;; amdgpu-corpus repo=ROCm/rocFFT kind=compiled arch=gfx906 opt=O3
	.text
	.amdgcn_target "amdgcn-amd-amdhsa--gfx906"
	.amdhsa_code_object_version 6
	.protected	fft_rtc_fwd_len320_factors_10_4_4_2_wgs_64_tpt_16_halfLds_half_ip_CI_unitstride_sbrr_C2R_dirReg ; -- Begin function fft_rtc_fwd_len320_factors_10_4_4_2_wgs_64_tpt_16_halfLds_half_ip_CI_unitstride_sbrr_C2R_dirReg
	.globl	fft_rtc_fwd_len320_factors_10_4_4_2_wgs_64_tpt_16_halfLds_half_ip_CI_unitstride_sbrr_C2R_dirReg
	.p2align	8
	.type	fft_rtc_fwd_len320_factors_10_4_4_2_wgs_64_tpt_16_halfLds_half_ip_CI_unitstride_sbrr_C2R_dirReg,@function
fft_rtc_fwd_len320_factors_10_4_4_2_wgs_64_tpt_16_halfLds_half_ip_CI_unitstride_sbrr_C2R_dirReg: ; @fft_rtc_fwd_len320_factors_10_4_4_2_wgs_64_tpt_16_halfLds_half_ip_CI_unitstride_sbrr_C2R_dirReg
; %bb.0:
	s_load_dwordx2 s[2:3], s[4:5], 0x50
	s_load_dwordx4 s[8:11], s[4:5], 0x0
	s_load_dwordx2 s[12:13], s[4:5], 0x18
	v_lshrrev_b32_e32 v9, 4, v0
	v_mov_b32_e32 v3, 0
	v_mov_b32_e32 v1, 0
	s_waitcnt lgkmcnt(0)
	v_cmp_lt_u64_e64 s[0:1], s[10:11], 2
	v_lshl_or_b32 v5, s6, 2, v9
	v_mov_b32_e32 v6, v3
	s_and_b64 vcc, exec, s[0:1]
	v_mov_b32_e32 v2, 0
	s_cbranch_vccnz .LBB0_8
; %bb.1:
	s_load_dwordx2 s[0:1], s[4:5], 0x10
	s_add_u32 s6, s12, 8
	s_addc_u32 s7, s13, 0
	v_mov_b32_e32 v1, 0
	v_mov_b32_e32 v2, 0
	s_waitcnt lgkmcnt(0)
	s_add_u32 s14, s0, 8
	s_addc_u32 s15, s1, 0
	s_mov_b64 s[16:17], 1
.LBB0_2:                                ; =>This Inner Loop Header: Depth=1
	s_load_dwordx2 s[18:19], s[14:15], 0x0
                                        ; implicit-def: $vgpr7_vgpr8
	s_waitcnt lgkmcnt(0)
	v_or_b32_e32 v4, s19, v6
	v_cmp_ne_u64_e32 vcc, 0, v[3:4]
	s_and_saveexec_b64 s[0:1], vcc
	s_xor_b64 s[20:21], exec, s[0:1]
	s_cbranch_execz .LBB0_4
; %bb.3:                                ;   in Loop: Header=BB0_2 Depth=1
	v_cvt_f32_u32_e32 v4, s18
	v_cvt_f32_u32_e32 v7, s19
	s_sub_u32 s0, 0, s18
	s_subb_u32 s1, 0, s19
	v_mac_f32_e32 v4, 0x4f800000, v7
	v_rcp_f32_e32 v4, v4
	v_mul_f32_e32 v4, 0x5f7ffffc, v4
	v_mul_f32_e32 v7, 0x2f800000, v4
	v_trunc_f32_e32 v7, v7
	v_mac_f32_e32 v4, 0xcf800000, v7
	v_cvt_u32_f32_e32 v7, v7
	v_cvt_u32_f32_e32 v4, v4
	v_mul_lo_u32 v8, s0, v7
	v_mul_hi_u32 v10, s0, v4
	v_mul_lo_u32 v12, s1, v4
	v_mul_lo_u32 v11, s0, v4
	v_add_u32_e32 v8, v10, v8
	v_add_u32_e32 v8, v8, v12
	v_mul_hi_u32 v10, v4, v11
	v_mul_lo_u32 v12, v4, v8
	v_mul_hi_u32 v14, v4, v8
	v_mul_hi_u32 v13, v7, v11
	v_mul_lo_u32 v11, v7, v11
	v_mul_hi_u32 v15, v7, v8
	v_add_co_u32_e32 v10, vcc, v10, v12
	v_addc_co_u32_e32 v12, vcc, 0, v14, vcc
	v_mul_lo_u32 v8, v7, v8
	v_add_co_u32_e32 v10, vcc, v10, v11
	v_addc_co_u32_e32 v10, vcc, v12, v13, vcc
	v_addc_co_u32_e32 v11, vcc, 0, v15, vcc
	v_add_co_u32_e32 v8, vcc, v10, v8
	v_addc_co_u32_e32 v10, vcc, 0, v11, vcc
	v_add_co_u32_e32 v4, vcc, v4, v8
	v_addc_co_u32_e32 v7, vcc, v7, v10, vcc
	v_mul_lo_u32 v8, s0, v7
	v_mul_hi_u32 v10, s0, v4
	v_mul_lo_u32 v11, s1, v4
	v_mul_lo_u32 v12, s0, v4
	v_add_u32_e32 v8, v10, v8
	v_add_u32_e32 v8, v8, v11
	v_mul_lo_u32 v13, v4, v8
	v_mul_hi_u32 v14, v4, v12
	v_mul_hi_u32 v15, v4, v8
	;; [unrolled: 1-line block ×3, first 2 shown]
	v_mul_lo_u32 v12, v7, v12
	v_mul_hi_u32 v10, v7, v8
	v_add_co_u32_e32 v13, vcc, v14, v13
	v_addc_co_u32_e32 v14, vcc, 0, v15, vcc
	v_mul_lo_u32 v8, v7, v8
	v_add_co_u32_e32 v12, vcc, v13, v12
	v_addc_co_u32_e32 v11, vcc, v14, v11, vcc
	v_addc_co_u32_e32 v10, vcc, 0, v10, vcc
	v_add_co_u32_e32 v8, vcc, v11, v8
	v_addc_co_u32_e32 v10, vcc, 0, v10, vcc
	v_add_co_u32_e32 v4, vcc, v4, v8
	v_addc_co_u32_e32 v10, vcc, v7, v10, vcc
	v_mad_u64_u32 v[7:8], s[0:1], v5, v10, 0
	v_mul_hi_u32 v11, v5, v4
	v_add_co_u32_e32 v12, vcc, v11, v7
	v_addc_co_u32_e32 v13, vcc, 0, v8, vcc
	v_mad_u64_u32 v[7:8], s[0:1], v6, v4, 0
	v_mad_u64_u32 v[10:11], s[0:1], v6, v10, 0
	v_add_co_u32_e32 v4, vcc, v12, v7
	v_addc_co_u32_e32 v4, vcc, v13, v8, vcc
	v_addc_co_u32_e32 v7, vcc, 0, v11, vcc
	v_add_co_u32_e32 v4, vcc, v4, v10
	v_addc_co_u32_e32 v10, vcc, 0, v7, vcc
	v_mul_lo_u32 v11, s19, v4
	v_mul_lo_u32 v12, s18, v10
	v_mad_u64_u32 v[7:8], s[0:1], s18, v4, 0
	v_add3_u32 v8, v8, v12, v11
	v_sub_u32_e32 v11, v6, v8
	v_mov_b32_e32 v12, s19
	v_sub_co_u32_e32 v7, vcc, v5, v7
	v_subb_co_u32_e64 v11, s[0:1], v11, v12, vcc
	v_subrev_co_u32_e64 v12, s[0:1], s18, v7
	v_subbrev_co_u32_e64 v11, s[0:1], 0, v11, s[0:1]
	v_cmp_le_u32_e64 s[0:1], s19, v11
	v_cndmask_b32_e64 v13, 0, -1, s[0:1]
	v_cmp_le_u32_e64 s[0:1], s18, v12
	v_cndmask_b32_e64 v12, 0, -1, s[0:1]
	v_cmp_eq_u32_e64 s[0:1], s19, v11
	v_cndmask_b32_e64 v11, v13, v12, s[0:1]
	v_add_co_u32_e64 v12, s[0:1], 2, v4
	v_addc_co_u32_e64 v13, s[0:1], 0, v10, s[0:1]
	v_add_co_u32_e64 v14, s[0:1], 1, v4
	v_addc_co_u32_e64 v15, s[0:1], 0, v10, s[0:1]
	v_subb_co_u32_e32 v8, vcc, v6, v8, vcc
	v_cmp_ne_u32_e64 s[0:1], 0, v11
	v_cmp_le_u32_e32 vcc, s19, v8
	v_cndmask_b32_e64 v11, v15, v13, s[0:1]
	v_cndmask_b32_e64 v13, 0, -1, vcc
	v_cmp_le_u32_e32 vcc, s18, v7
	v_cndmask_b32_e64 v7, 0, -1, vcc
	v_cmp_eq_u32_e32 vcc, s19, v8
	v_cndmask_b32_e32 v7, v13, v7, vcc
	v_cmp_ne_u32_e32 vcc, 0, v7
	v_cndmask_b32_e64 v7, v14, v12, s[0:1]
	v_cndmask_b32_e32 v8, v10, v11, vcc
	v_cndmask_b32_e32 v7, v4, v7, vcc
.LBB0_4:                                ;   in Loop: Header=BB0_2 Depth=1
	s_andn2_saveexec_b64 s[0:1], s[20:21]
	s_cbranch_execz .LBB0_6
; %bb.5:                                ;   in Loop: Header=BB0_2 Depth=1
	v_cvt_f32_u32_e32 v4, s18
	s_sub_i32 s20, 0, s18
	v_rcp_iflag_f32_e32 v4, v4
	v_mul_f32_e32 v4, 0x4f7ffffe, v4
	v_cvt_u32_f32_e32 v4, v4
	v_mul_lo_u32 v7, s20, v4
	v_mul_hi_u32 v7, v4, v7
	v_add_u32_e32 v4, v4, v7
	v_mul_hi_u32 v4, v5, v4
	v_mul_lo_u32 v7, v4, s18
	v_add_u32_e32 v8, 1, v4
	v_sub_u32_e32 v7, v5, v7
	v_subrev_u32_e32 v10, s18, v7
	v_cmp_le_u32_e32 vcc, s18, v7
	v_cndmask_b32_e32 v7, v7, v10, vcc
	v_cndmask_b32_e32 v4, v4, v8, vcc
	v_add_u32_e32 v8, 1, v4
	v_cmp_le_u32_e32 vcc, s18, v7
	v_cndmask_b32_e32 v7, v4, v8, vcc
	v_mov_b32_e32 v8, v3
.LBB0_6:                                ;   in Loop: Header=BB0_2 Depth=1
	s_or_b64 exec, exec, s[0:1]
	v_mul_lo_u32 v4, v8, s18
	v_mul_lo_u32 v12, v7, s19
	v_mad_u64_u32 v[10:11], s[0:1], v7, s18, 0
	s_load_dwordx2 s[0:1], s[6:7], 0x0
	s_add_u32 s16, s16, 1
	v_add3_u32 v4, v11, v12, v4
	v_sub_co_u32_e32 v5, vcc, v5, v10
	v_subb_co_u32_e32 v4, vcc, v6, v4, vcc
	s_waitcnt lgkmcnt(0)
	v_mul_lo_u32 v4, s0, v4
	v_mul_lo_u32 v6, s1, v5
	v_mad_u64_u32 v[1:2], s[0:1], s0, v5, v[1:2]
	s_addc_u32 s17, s17, 0
	s_add_u32 s6, s6, 8
	v_add3_u32 v2, v6, v2, v4
	v_mov_b32_e32 v4, s10
	v_mov_b32_e32 v5, s11
	s_addc_u32 s7, s7, 0
	v_cmp_ge_u64_e32 vcc, s[16:17], v[4:5]
	s_add_u32 s14, s14, 8
	s_addc_u32 s15, s15, 0
	s_cbranch_vccnz .LBB0_9
; %bb.7:                                ;   in Loop: Header=BB0_2 Depth=1
	v_mov_b32_e32 v5, v7
	v_mov_b32_e32 v6, v8
	s_branch .LBB0_2
.LBB0_8:
	v_mov_b32_e32 v8, v6
	v_mov_b32_e32 v7, v5
.LBB0_9:
	s_lshl_b64 s[0:1], s[10:11], 3
	s_add_u32 s0, s12, s0
	s_addc_u32 s1, s13, s1
	s_load_dwordx2 s[6:7], s[0:1], 0x0
	s_load_dwordx2 s[10:11], s[4:5], 0x20
	v_mul_u32_u24_e32 v9, 0x141, v9
	v_and_b32_e32 v4, 15, v0
	v_lshlrev_b32_e32 v25, 2, v9
	s_waitcnt lgkmcnt(0)
	v_mul_lo_u32 v3, s6, v8
	v_mul_lo_u32 v5, s7, v7
	v_mad_u64_u32 v[1:2], s[0:1], s6, v7, v[1:2]
	v_cmp_gt_u64_e32 vcc, s[10:11], v[7:8]
	v_mov_b32_e32 v0, v4
	v_add3_u32 v2, v5, v2, v3
	v_lshlrev_b64 v[2:3], 2, v[1:2]
	s_and_saveexec_b64 s[4:5], vcc
	s_cbranch_execz .LBB0_13
; %bb.10:
	v_mov_b32_e32 v1, s3
	v_add_co_u32_e64 v0, s[0:1], s2, v2
	v_addc_co_u32_e64 v1, s[0:1], v1, v3, s[0:1]
	v_lshlrev_b32_e32 v7, 2, v4
	v_add_co_u32_e64 v5, s[0:1], v0, v7
	v_addc_co_u32_e64 v6, s[0:1], 0, v1, s[0:1]
	global_load_dword v8, v[5:6], off
	global_load_dword v10, v[5:6], off offset:64
	global_load_dword v11, v[5:6], off offset:128
	;; [unrolled: 1-line block ×19, first 2 shown]
	v_add3_u32 v7, 0, v25, v7
	v_add_u32_e32 v5, 0x400, v7
	v_cmp_eq_u32_e64 s[0:1], 15, v4
	s_waitcnt vmcnt(18)
	ds_write2_b32 v7, v8, v10 offset1:16
	s_waitcnt vmcnt(16)
	ds_write2_b32 v7, v11, v12 offset0:32 offset1:48
	s_waitcnt vmcnt(14)
	ds_write2_b32 v7, v13, v14 offset0:64 offset1:80
	;; [unrolled: 2-line block ×7, first 2 shown]
	s_waitcnt vmcnt(2)
	ds_write2_b32 v5, v26, v27 offset1:16
	s_waitcnt vmcnt(0)
	ds_write2_b32 v5, v28, v29 offset0:32 offset1:48
	v_mov_b32_e32 v6, v5
	v_mov_b32_e32 v5, v4
	s_and_saveexec_b64 s[6:7], s[0:1]
	s_cbranch_execz .LBB0_12
; %bb.11:
	global_load_dword v0, v[0:1], off offset:1280
	v_mov_b32_e32 v5, 15
	v_mov_b32_e32 v6, 0
	;; [unrolled: 1-line block ×3, first 2 shown]
	s_waitcnt vmcnt(0)
	ds_write_b32 v7, v0 offset:1220
.LBB0_12:
	s_or_b64 exec, exec, s[6:7]
	v_mov_b32_e32 v0, v4
	v_mov_b32_e32 v4, v5
	;; [unrolled: 1-line block ×3, first 2 shown]
.LBB0_13:
	s_or_b64 exec, exec, s[4:5]
	v_lshl_add_u32 v22, v9, 2, 0
	v_lshlrev_b32_e32 v23, 2, v0
	v_add_u32_e32 v1, v22, v23
	s_waitcnt lgkmcnt(0)
	; wave barrier
	s_waitcnt lgkmcnt(0)
	v_sub_u32_e32 v5, v22, v23
	ds_read_u16 v8, v1
	ds_read_u16 v9, v5 offset:1280
	v_cmp_ne_u32_e64 s[0:1], 0, v0
	v_lshlrev_b32_e32 v24, 2, v4
	s_waitcnt lgkmcnt(0)
	v_add_f16_e32 v6, v9, v8
	v_sub_f16_e32 v7, v8, v9
	s_and_saveexec_b64 s[4:5], s[0:1]
	s_xor_b64 s[0:1], exec, s[4:5]
	s_cbranch_execz .LBB0_15
; %bb.14:
	global_load_dword v4, v24, s[8:9] offset:1240
	ds_read_u16 v6, v5 offset:1282
	ds_read_u16 v7, v1 offset:2
	v_add_f16_e32 v10, v9, v8
	v_sub_f16_e32 v8, v8, v9
	s_waitcnt lgkmcnt(0)
	v_add_f16_e32 v9, v6, v7
	v_sub_f16_e32 v6, v7, v6
	s_waitcnt vmcnt(0)
	v_lshrrev_b32_e32 v7, 16, v4
	v_fma_f16 v11, v8, v7, v10
	v_fma_f16 v12, v9, v7, v6
	v_fma_f16 v10, -v8, v7, v10
	v_fma_f16 v13, v9, v7, -v6
	v_fma_f16 v6, -v4, v9, v11
	v_fma_f16 v7, v8, v4, v12
	v_fma_f16 v9, v4, v9, v10
	;; [unrolled: 1-line block ×3, first 2 shown]
	v_pack_b32_f16 v4, v9, v4
	ds_write_b32 v5, v4 offset:1280
.LBB0_15:
	s_andn2_saveexec_b64 s[0:1], s[0:1]
	s_cbranch_execz .LBB0_17
; %bb.16:
	ds_read_b32 v4, v22 offset:640
	s_mov_b32 s4, 0xc0004000
	s_waitcnt lgkmcnt(0)
	v_pk_mul_f16 v4, v4, s4
	ds_write_b32 v22, v4 offset:640
.LBB0_17:
	s_or_b64 exec, exec, s[0:1]
	s_add_u32 s0, s8, 0x4d8
	s_addc_u32 s1, s9, 0
	global_load_dword v4, v23, s[0:1] offset:64
	global_load_dword v8, v23, s[0:1] offset:128
	;; [unrolled: 1-line block ×4, first 2 shown]
	s_mov_b32 s4, 0x5040100
	v_perm_b32 v6, v7, v6, s4
	ds_write_b32 v1, v6
	ds_read_b32 v6, v1 offset:64
	ds_read_b32 v7, v5 offset:1216
	global_load_dword v11, v23, s[0:1] offset:320
	global_load_dword v12, v23, s[0:1] offset:384
	;; [unrolled: 1-line block ×4, first 2 shown]
	v_add3_u32 v26, 0, v23, v25
	v_add_u32_e32 v28, 0x200, v26
	s_movk_i32 s5, 0x3b9c
	s_waitcnt lgkmcnt(0)
	v_add_f16_e32 v15, v6, v7
	v_add_f16_sdwa v16, v7, v6 dst_sel:DWORD dst_unused:UNUSED_PAD src0_sel:WORD_1 src1_sel:WORD_1
	v_sub_f16_e32 v17, v6, v7
	v_sub_f16_sdwa v6, v6, v7 dst_sel:DWORD dst_unused:UNUSED_PAD src0_sel:WORD_1 src1_sel:WORD_1
	s_movk_i32 s4, 0x34f2
	s_movk_i32 s6, 0x38b4
	v_add_u32_e32 v27, 0x400, v26
	s_movk_i32 s7, 0x3a79
	s_waitcnt vmcnt(7)
	v_lshrrev_b32_e32 v7, 16, v4
	v_fma_f16 v18, v17, v7, v15
	v_fma_f16 v19, v16, v7, v6
	v_fma_f16 v15, -v17, v7, v15
	v_fma_f16 v6, v16, v7, -v6
	v_fma_f16 v7, -v4, v16, v18
	v_fma_f16 v18, v17, v4, v19
	v_fma_f16 v15, v4, v16, v15
	v_fma_f16 v4, v17, v4, v6
	v_pack_b32_f16 v6, v7, v18
	v_pack_b32_f16 v4, v15, v4
	ds_write_b32 v1, v6 offset:64
	ds_write_b32 v5, v4 offset:1216
	ds_read_b32 v4, v1 offset:128
	ds_read_b32 v6, v5 offset:1152
	s_waitcnt vmcnt(6)
	v_lshrrev_b32_e32 v7, 16, v8
	s_waitcnt lgkmcnt(0)
	v_add_f16_e32 v15, v4, v6
	v_add_f16_sdwa v16, v6, v4 dst_sel:DWORD dst_unused:UNUSED_PAD src0_sel:WORD_1 src1_sel:WORD_1
	v_sub_f16_e32 v17, v4, v6
	v_sub_f16_sdwa v4, v4, v6 dst_sel:DWORD dst_unused:UNUSED_PAD src0_sel:WORD_1 src1_sel:WORD_1
	v_fma_f16 v6, v17, v7, v15
	v_fma_f16 v18, v16, v7, v4
	v_fma_f16 v15, -v17, v7, v15
	v_fma_f16 v4, v16, v7, -v4
	v_fma_f16 v6, -v8, v16, v6
	v_fma_f16 v7, v17, v8, v18
	v_fma_f16 v15, v8, v16, v15
	v_fma_f16 v4, v17, v8, v4
	v_pack_b32_f16 v6, v6, v7
	v_pack_b32_f16 v4, v15, v4
	ds_write_b32 v1, v6 offset:128
	ds_write_b32 v5, v4 offset:1152
	ds_read_b32 v4, v1 offset:192
	ds_read_b32 v6, v5 offset:1088
	s_waitcnt vmcnt(5)
	v_lshrrev_b32_e32 v7, 16, v9
	s_waitcnt lgkmcnt(0)
	v_add_f16_e32 v8, v4, v6
	v_add_f16_sdwa v15, v6, v4 dst_sel:DWORD dst_unused:UNUSED_PAD src0_sel:WORD_1 src1_sel:WORD_1
	v_sub_f16_e32 v16, v4, v6
	v_sub_f16_sdwa v4, v4, v6 dst_sel:DWORD dst_unused:UNUSED_PAD src0_sel:WORD_1 src1_sel:WORD_1
	;; [unrolled: 21-line block ×3, first 2 shown]
	v_fma_f16 v6, v15, v7, v8
	v_fma_f16 v16, v9, v7, v4
	v_fma_f16 v8, -v15, v7, v8
	v_fma_f16 v4, v9, v7, -v4
	v_fma_f16 v6, -v10, v9, v6
	v_fma_f16 v7, v15, v10, v16
	v_fma_f16 v8, v10, v9, v8
	;; [unrolled: 1-line block ×3, first 2 shown]
	v_pack_b32_f16 v6, v6, v7
	v_pack_b32_f16 v4, v8, v4
	ds_write_b32 v1, v6 offset:256
	ds_write_b32 v5, v4 offset:1024
	ds_read_b32 v4, v1 offset:320
	ds_read_b32 v6, v5 offset:960
	global_load_dword v7, v23, s[0:1] offset:576
	s_waitcnt vmcnt(4)
	v_lshrrev_b32_e32 v8, 16, v11
	s_mov_b32 s1, 0xbb9c
	s_mov_b32 s0, 0xb8b4
	s_waitcnt lgkmcnt(0)
	v_add_f16_e32 v9, v4, v6
	v_add_f16_sdwa v10, v6, v4 dst_sel:DWORD dst_unused:UNUSED_PAD src0_sel:WORD_1 src1_sel:WORD_1
	v_sub_f16_e32 v15, v4, v6
	v_sub_f16_sdwa v4, v4, v6 dst_sel:DWORD dst_unused:UNUSED_PAD src0_sel:WORD_1 src1_sel:WORD_1
	v_fma_f16 v6, v15, v8, v9
	v_fma_f16 v16, v10, v8, v4
	v_fma_f16 v9, -v15, v8, v9
	v_fma_f16 v4, v10, v8, -v4
	v_fma_f16 v6, -v11, v10, v6
	v_fma_f16 v8, v15, v11, v16
	v_fma_f16 v9, v11, v10, v9
	;; [unrolled: 1-line block ×3, first 2 shown]
	v_pack_b32_f16 v6, v6, v8
	v_pack_b32_f16 v4, v9, v4
	ds_write_b32 v1, v6 offset:320
	ds_write_b32 v5, v4 offset:960
	ds_read_b32 v4, v1 offset:384
	ds_read_b32 v6, v5 offset:896
	s_waitcnt vmcnt(3)
	v_lshrrev_b32_e32 v8, 16, v12
	s_waitcnt lgkmcnt(0)
	v_add_f16_e32 v9, v4, v6
	v_add_f16_sdwa v10, v6, v4 dst_sel:DWORD dst_unused:UNUSED_PAD src0_sel:WORD_1 src1_sel:WORD_1
	v_sub_f16_e32 v11, v4, v6
	v_sub_f16_sdwa v4, v4, v6 dst_sel:DWORD dst_unused:UNUSED_PAD src0_sel:WORD_1 src1_sel:WORD_1
	v_fma_f16 v6, v11, v8, v9
	v_fma_f16 v15, v10, v8, v4
	v_fma_f16 v9, -v11, v8, v9
	v_fma_f16 v4, v10, v8, -v4
	v_fma_f16 v6, -v12, v10, v6
	v_fma_f16 v8, v11, v12, v15
	v_fma_f16 v9, v12, v10, v9
	;; [unrolled: 1-line block ×3, first 2 shown]
	v_pack_b32_f16 v6, v6, v8
	v_pack_b32_f16 v4, v9, v4
	ds_write_b32 v1, v6 offset:384
	ds_write_b32 v5, v4 offset:896
	ds_read_b32 v4, v1 offset:448
	ds_read_b32 v6, v5 offset:832
	s_waitcnt vmcnt(2)
	v_lshrrev_b32_e32 v8, 16, v13
	s_waitcnt lgkmcnt(0)
	v_add_f16_e32 v9, v4, v6
	v_add_f16_sdwa v10, v6, v4 dst_sel:DWORD dst_unused:UNUSED_PAD src0_sel:WORD_1 src1_sel:WORD_1
	v_sub_f16_e32 v11, v4, v6
	v_sub_f16_sdwa v4, v4, v6 dst_sel:DWORD dst_unused:UNUSED_PAD src0_sel:WORD_1 src1_sel:WORD_1
	v_fma_f16 v6, v11, v8, v9
	v_fma_f16 v12, v10, v8, v4
	v_fma_f16 v9, -v11, v8, v9
	v_fma_f16 v4, v10, v8, -v4
	v_fma_f16 v6, -v13, v10, v6
	v_fma_f16 v8, v11, v13, v12
	v_fma_f16 v9, v13, v10, v9
	;; [unrolled: 1-line block ×3, first 2 shown]
	v_pack_b32_f16 v6, v6, v8
	v_pack_b32_f16 v4, v9, v4
	ds_write_b32 v1, v6 offset:448
	ds_write_b32 v5, v4 offset:832
	ds_read_b32 v4, v1 offset:512
	ds_read_b32 v6, v5 offset:768
	s_waitcnt lgkmcnt(0)
	v_add_f16_e32 v8, v4, v6
	v_add_f16_sdwa v9, v6, v4 dst_sel:DWORD dst_unused:UNUSED_PAD src0_sel:WORD_1 src1_sel:WORD_1
	v_sub_f16_e32 v10, v4, v6
	v_sub_f16_sdwa v4, v4, v6 dst_sel:DWORD dst_unused:UNUSED_PAD src0_sel:WORD_1 src1_sel:WORD_1
	s_waitcnt vmcnt(1)
	v_lshrrev_b32_e32 v6, 16, v14
	v_fma_f16 v11, v10, v6, v8
	v_fma_f16 v12, v9, v6, v4
	v_fma_f16 v8, -v10, v6, v8
	v_fma_f16 v4, v9, v6, -v4
	v_fma_f16 v11, -v14, v9, v11
	v_fma_f16 v12, v10, v14, v12
	v_fma_f16 v8, v14, v9, v8
	;; [unrolled: 1-line block ×3, first 2 shown]
	v_pack_b32_f16 v11, v11, v12
	v_pack_b32_f16 v4, v8, v4
	ds_write_b32 v1, v11 offset:512
	ds_write_b32 v5, v4 offset:768
	ds_read_b32 v4, v1 offset:576
	ds_read_b32 v6, v5 offset:704
	s_waitcnt lgkmcnt(0)
	v_add_f16_e32 v8, v4, v6
	v_add_f16_sdwa v9, v6, v4 dst_sel:DWORD dst_unused:UNUSED_PAD src0_sel:WORD_1 src1_sel:WORD_1
	v_sub_f16_e32 v10, v4, v6
	v_sub_f16_sdwa v4, v4, v6 dst_sel:DWORD dst_unused:UNUSED_PAD src0_sel:WORD_1 src1_sel:WORD_1
	s_waitcnt vmcnt(0)
	v_lshrrev_b32_e32 v6, 16, v7
	v_fma_f16 v11, v10, v6, v8
	v_fma_f16 v12, v9, v6, v4
	v_fma_f16 v8, -v10, v6, v8
	v_fma_f16 v4, v9, v6, -v4
	v_fma_f16 v11, -v7, v9, v11
	v_fma_f16 v12, v10, v7, v12
	v_fma_f16 v8, v7, v9, v8
	;; [unrolled: 1-line block ×3, first 2 shown]
	v_pack_b32_f16 v11, v11, v12
	v_pack_b32_f16 v4, v8, v4
	ds_write_b32 v1, v11 offset:576
	ds_write_b32 v5, v4 offset:704
	v_mul_u32_u24_e32 v4, 10, v0
	v_lshlrev_b32_e32 v4, 2, v4
	s_waitcnt lgkmcnt(0)
	; wave barrier
	s_waitcnt lgkmcnt(0)
	s_waitcnt lgkmcnt(0)
	; wave barrier
	s_waitcnt lgkmcnt(0)
	v_add3_u32 v29, 0, v4, v25
	ds_read2_b32 v[20:21], v26 offset0:16 offset1:32
	ds_read2_b32 v[6:7], v26 offset0:48 offset1:64
	;; [unrolled: 1-line block ×8, first 2 shown]
	ds_read_b32 v30, v1
	s_waitcnt lgkmcnt(5)
	v_sub_f16_e32 v36, v7, v5
	ds_read2_b32 v[14:15], v27 offset0:16 offset1:32
	s_waitcnt lgkmcnt(4)
	v_add_f16_e32 v31, v5, v9
	s_waitcnt lgkmcnt(2)
	v_sub_f16_sdwa v32, v7, v11 dst_sel:DWORD dst_unused:UNUSED_PAD src0_sel:WORD_1 src1_sel:WORD_1
	s_waitcnt lgkmcnt(1)
	v_fma_f16 v31, v31, -0.5, v30
	v_fma_f16 v33, v32, s5, v31
	v_sub_f16_sdwa v34, v5, v9 dst_sel:DWORD dst_unused:UNUSED_PAD src0_sel:WORD_1 src1_sel:WORD_1
	v_sub_f16_e32 v35, v11, v9
	v_fma_f16 v31, v32, s1, v31
	v_add_f16_e32 v35, v36, v35
	v_fma_f16 v31, v34, s0, v31
	v_fma_f16 v39, v35, s4, v31
	v_add_f16_e32 v31, v7, v11
	v_fma_f16 v33, v34, s6, v33
	v_fma_f16 v31, v31, -0.5, v30
	v_fma_f16 v38, v35, s4, v33
	v_fma_f16 v33, v34, s1, v31
	v_sub_f16_e32 v35, v9, v11
	v_sub_f16_e32 v36, v5, v7
	v_fma_f16 v31, v34, s5, v31
	v_add_f16_e32 v35, v36, v35
	v_fma_f16 v31, v32, s0, v31
	v_fma_f16 v33, v32, s6, v33
	v_fma_f16 v32, v35, s4, v31
	v_pk_add_f16 v31, v30, v7
	v_pk_add_f16 v31, v31, v5
	;; [unrolled: 1-line block ×4, first 2 shown]
	v_add_f16_sdwa v31, v5, v9 dst_sel:DWORD dst_unused:UNUSED_PAD src0_sel:WORD_1 src1_sel:WORD_1
	v_lshrrev_b32_e32 v30, 16, v30
	v_fma_f16 v40, v35, s4, v33
	v_fma_f16 v31, v31, -0.5, v30
	v_sub_f16_e32 v33, v7, v11
	v_fma_f16 v34, v33, s1, v31
	v_sub_f16_e32 v35, v5, v9
	v_sub_f16_sdwa v36, v7, v5 dst_sel:DWORD dst_unused:UNUSED_PAD src0_sel:WORD_1 src1_sel:WORD_1
	v_sub_f16_sdwa v42, v11, v9 dst_sel:DWORD dst_unused:UNUSED_PAD src0_sel:WORD_1 src1_sel:WORD_1
	v_fma_f16 v31, v33, s5, v31
	v_add_f16_e32 v36, v36, v42
	v_fma_f16 v31, v35, s6, v31
	v_fma_f16 v45, v36, s4, v31
	v_add_f16_sdwa v31, v7, v11 dst_sel:DWORD dst_unused:UNUSED_PAD src0_sel:WORD_1 src1_sel:WORD_1
	v_fma_f16 v30, v31, -0.5, v30
	v_sub_f16_sdwa v5, v5, v7 dst_sel:DWORD dst_unused:UNUSED_PAD src0_sel:WORD_1 src1_sel:WORD_1
	v_sub_f16_sdwa v7, v9, v11 dst_sel:DWORD dst_unused:UNUSED_PAD src0_sel:WORD_1 src1_sel:WORD_1
	v_fma_f16 v31, v35, s5, v30
	v_add_f16_e32 v5, v5, v7
	v_fma_f16 v7, v35, s1, v30
	v_fma_f16 v31, v33, s0, v31
	;; [unrolled: 1-line block ×5, first 2 shown]
	v_add_f16_e32 v5, v19, v13
	v_fma_f16 v5, v5, -0.5, v21
	s_waitcnt lgkmcnt(0)
	v_sub_f16_sdwa v7, v17, v15 dst_sel:DWORD dst_unused:UNUSED_PAD src0_sel:WORD_1 src1_sel:WORD_1
	v_fma_f16 v11, v7, s5, v5
	v_sub_f16_sdwa v30, v19, v13 dst_sel:DWORD dst_unused:UNUSED_PAD src0_sel:WORD_1 src1_sel:WORD_1
	v_sub_f16_e32 v31, v15, v13
	v_sub_f16_e32 v33, v17, v19
	v_fma_f16 v5, v7, s1, v5
	v_fma_f16 v11, v30, s6, v11
	v_add_f16_e32 v31, v33, v31
	v_fma_f16 v5, v30, s0, v5
	v_fma_f16 v11, v31, s4, v11
	;; [unrolled: 1-line block ×3, first 2 shown]
	v_add_f16_e32 v31, v17, v15
	v_fma_f16 v31, v31, -0.5, v21
	v_fma_f16 v33, v30, s1, v31
	v_fma_f16 v30, v30, s5, v31
	;; [unrolled: 1-line block ×4, first 2 shown]
	v_pk_add_f16 v30, v21, v17
	v_pk_add_f16 v30, v30, v19
	v_fma_f16 v34, v35, s0, v34
	v_pk_add_f16 v30, v30, v13
	v_fma_f16 v42, v36, s4, v34
	v_sub_f16_e32 v34, v13, v15
	v_sub_f16_e32 v35, v19, v17
	v_pk_add_f16 v48, v30, v15
	v_add_f16_sdwa v30, v19, v13 dst_sel:DWORD dst_unused:UNUSED_PAD src0_sel:WORD_1 src1_sel:WORD_1
	v_lshrrev_b32_e32 v21, 16, v21
	v_add_f16_e32 v34, v35, v34
	v_fma_f16 v30, v30, -0.5, v21
	v_sub_f16_e32 v31, v17, v15
	v_fma_f16 v35, v34, s4, v33
	v_fma_f16 v7, v34, s4, v7
	;; [unrolled: 1-line block ×3, first 2 shown]
	v_sub_f16_e32 v34, v19, v13
	v_sub_f16_sdwa v36, v17, v19 dst_sel:DWORD dst_unused:UNUSED_PAD src0_sel:WORD_1 src1_sel:WORD_1
	v_sub_f16_sdwa v43, v15, v13 dst_sel:DWORD dst_unused:UNUSED_PAD src0_sel:WORD_1 src1_sel:WORD_1
	v_fma_f16 v30, v31, s5, v30
	v_add_f16_e32 v36, v36, v43
	v_fma_f16 v30, v34, s6, v30
	v_fma_f16 v49, v36, s4, v30
	v_add_f16_sdwa v30, v17, v15 dst_sel:DWORD dst_unused:UNUSED_PAD src0_sel:WORD_1 src1_sel:WORD_1
	v_fma_f16 v21, v30, -0.5, v21
	v_sub_f16_sdwa v17, v19, v17 dst_sel:DWORD dst_unused:UNUSED_PAD src0_sel:WORD_1 src1_sel:WORD_1
	v_sub_f16_sdwa v13, v13, v15 dst_sel:DWORD dst_unused:UNUSED_PAD src0_sel:WORD_1 src1_sel:WORD_1
	v_fma_f16 v30, v34, s5, v21
	v_add_f16_e32 v13, v17, v13
	v_fma_f16 v17, v34, s1, v21
	v_fma_f16 v33, v34, s0, v33
	v_fma_f16 v30, v31, s0, v30
	v_fma_f16 v17, v31, s6, v17
	v_fma_f16 v46, v36, s4, v33
	v_fma_f16 v15, v13, s4, v30
	v_fma_f16 v13, v13, s4, v17
	v_mul_f16_e32 v17, 0x3a79, v11
	v_mul_f16_e32 v11, 0xb8b4, v11
	v_fma_f16 v51, v46, s7, v11
	v_mul_f16_e32 v11, 0xbb9c, v35
	v_mul_f16_e32 v19, 0x3b9c, v15
	;; [unrolled: 1-line block ×3, first 2 shown]
	v_fma_f16 v15, v15, s4, v11
	v_mul_f16_e32 v11, 0x34f2, v13
	v_fma_f16 v21, v13, s5, -v21
	v_mul_f16_e32 v30, 0x3a79, v5
	v_fma_f16 v52, v7, s1, -v11
	v_mul_f16_e32 v7, 0x3a79, v49
	v_fma_f16 v17, v46, s6, v17
	v_add_f16_e32 v34, v32, v21
	v_fma_f16 v50, v49, s6, -v30
	v_fma_f16 v49, v5, s0, -v7
	v_sub_f16_e32 v5, v32, v21
	v_add_f16_e32 v21, v18, v12
	v_add_f16_e32 v44, v38, v17
	v_fma_f16 v19, v35, s4, v19
	v_sub_f16_e32 v11, v38, v17
	v_fma_f16 v21, v21, -0.5, v20
	v_sub_f16_sdwa v38, v16, v14 dst_sel:DWORD dst_unused:UNUSED_PAD src0_sel:WORD_1 src1_sel:WORD_1
	v_add_f16_e32 v33, v40, v19
	v_add_f16_e32 v30, v39, v50
	v_pk_add_f16 v43, v41, v48
	v_add_f16_e32 v46, v42, v51
	v_sub_f16_e32 v13, v40, v19
	v_sub_f16_e32 v7, v39, v50
	;; [unrolled: 1-line block ×3, first 2 shown]
	v_pk_add_f16 v32, v41, v48 neg_lo:[0,1] neg_hi:[0,1]
	v_fma_f16 v39, v38, s5, v21
	v_sub_f16_sdwa v40, v18, v12 dst_sel:DWORD dst_unused:UNUSED_PAD src0_sel:WORD_1 src1_sel:WORD_1
	v_sub_f16_e32 v41, v14, v12
	v_sub_f16_e32 v42, v16, v18
	v_fma_f16 v21, v38, s1, v21
	v_add_f16_e32 v41, v42, v41
	v_fma_f16 v21, v40, s0, v21
	v_fma_f16 v50, v41, s4, v21
	v_add_f16_e32 v21, v16, v14
	v_fma_f16 v39, v40, s6, v39
	v_fma_f16 v21, v21, -0.5, v20
	v_add_f16_e32 v35, v9, v15
	v_add_f16_e32 v31, v45, v49
	v_sub_f16_e32 v19, v9, v15
	v_sub_f16_e32 v15, v45, v49
	v_fma_f16 v49, v41, s4, v39
	v_fma_f16 v39, v40, s1, v21
	v_sub_f16_e32 v41, v12, v14
	v_sub_f16_e32 v42, v18, v16
	v_fma_f16 v21, v40, s5, v21
	v_fma_f16 v39, v38, s6, v39
	v_add_f16_e32 v41, v42, v41
	v_fma_f16 v21, v38, s0, v21
	v_fma_f16 v51, v41, s4, v39
	;; [unrolled: 1-line block ×3, first 2 shown]
	v_pk_add_f16 v21, v20, v16
	v_add_f16_sdwa v39, v18, v12 dst_sel:DWORD dst_unused:UNUSED_PAD src0_sel:WORD_1 src1_sel:WORD_1
	v_lshrrev_b32_e32 v20, 16, v20
	v_fma_f16 v39, v39, -0.5, v20
	v_sub_f16_e32 v40, v16, v14
	v_add_f16_e32 v36, v47, v52
	v_sub_f16_e32 v9, v47, v52
	v_fma_f16 v41, v40, s1, v39
	v_sub_f16_e32 v42, v18, v12
	v_sub_f16_sdwa v45, v16, v18 dst_sel:DWORD dst_unused:UNUSED_PAD src0_sel:WORD_1 src1_sel:WORD_1
	v_sub_f16_sdwa v47, v14, v12 dst_sel:DWORD dst_unused:UNUSED_PAD src0_sel:WORD_1 src1_sel:WORD_1
	v_fma_f16 v39, v40, s5, v39
	v_add_f16_e32 v45, v45, v47
	v_fma_f16 v39, v42, s6, v39
	ds_read_b32 v37, v26 offset:1216
	v_pk_add_f16 v21, v21, v18
	v_fma_f16 v53, v45, s4, v39
	v_add_f16_sdwa v39, v16, v14 dst_sel:DWORD dst_unused:UNUSED_PAD src0_sel:WORD_1 src1_sel:WORD_1
	v_pk_add_f16 v21, v21, v12
	v_fma_f16 v20, v39, -0.5, v20
	v_pk_add_f16 v21, v21, v14
	v_fma_f16 v39, v42, s5, v20
	v_sub_f16_sdwa v16, v18, v16 dst_sel:DWORD dst_unused:UNUSED_PAD src0_sel:WORD_1 src1_sel:WORD_1
	v_sub_f16_sdwa v12, v12, v14 dst_sel:DWORD dst_unused:UNUSED_PAD src0_sel:WORD_1 src1_sel:WORD_1
	v_fma_f16 v14, v42, s1, v20
	v_fma_f16 v39, v40, s0, v39
	v_add_f16_e32 v12, v16, v12
	v_fma_f16 v14, v40, s6, v14
	v_fma_f16 v18, v12, s4, v39
	v_fma_f16 v54, v12, s4, v14
	v_add_f16_e32 v12, v8, v10
	v_fma_f16 v12, v12, -0.5, v6
	s_waitcnt lgkmcnt(0)
	v_sub_f16_sdwa v14, v4, v37 dst_sel:DWORD dst_unused:UNUSED_PAD src0_sel:WORD_1 src1_sel:WORD_1
	v_fma_f16 v16, v14, s5, v12
	v_sub_f16_sdwa v20, v8, v10 dst_sel:DWORD dst_unused:UNUSED_PAD src0_sel:WORD_1 src1_sel:WORD_1
	v_sub_f16_e32 v39, v37, v10
	v_sub_f16_e32 v40, v4, v8
	v_fma_f16 v12, v14, s1, v12
	v_add_f16_e32 v39, v40, v39
	v_fma_f16 v12, v20, s0, v12
	v_fma_f16 v55, v39, s4, v12
	v_add_f16_e32 v12, v4, v37
	v_fma_f16 v41, v42, s0, v41
	v_fma_f16 v16, v20, s6, v16
	v_fma_f16 v12, v12, -0.5, v6
	v_fma_f16 v52, v45, s4, v41
	v_fma_f16 v16, v39, s4, v16
	;; [unrolled: 1-line block ×3, first 2 shown]
	v_sub_f16_e32 v40, v10, v37
	v_sub_f16_e32 v41, v8, v4
	v_fma_f16 v12, v20, s5, v12
	v_add_f16_e32 v40, v41, v40
	v_fma_f16 v12, v14, s0, v12
	v_fma_f16 v39, v14, s6, v39
	;; [unrolled: 1-line block ×3, first 2 shown]
	v_pk_add_f16 v12, v6, v4
	v_add_f16_sdwa v20, v8, v10 dst_sel:DWORD dst_unused:UNUSED_PAD src0_sel:WORD_1 src1_sel:WORD_1
	v_lshrrev_b32_e32 v6, 16, v6
	v_fma_f16 v41, v40, s4, v39
	v_fma_f16 v20, v20, -0.5, v6
	v_sub_f16_e32 v39, v4, v37
	v_fma_f16 v40, v39, s1, v20
	v_sub_f16_e32 v42, v8, v10
	v_sub_f16_sdwa v45, v4, v8 dst_sel:DWORD dst_unused:UNUSED_PAD src0_sel:WORD_1 src1_sel:WORD_1
	v_sub_f16_sdwa v47, v37, v10 dst_sel:DWORD dst_unused:UNUSED_PAD src0_sel:WORD_1 src1_sel:WORD_1
	v_fma_f16 v40, v42, s0, v40
	v_add_f16_e32 v45, v45, v47
	v_fma_f16 v48, v45, s4, v40
	v_add_f16_sdwa v40, v4, v37 dst_sel:DWORD dst_unused:UNUSED_PAD src0_sel:WORD_1 src1_sel:WORD_1
	v_fma_f16 v6, v40, -0.5, v6
	v_pk_add_f16 v12, v12, v8
	v_fma_f16 v40, v42, s5, v6
	v_sub_f16_sdwa v4, v8, v4 dst_sel:DWORD dst_unused:UNUSED_PAD src0_sel:WORD_1 src1_sel:WORD_1
	v_sub_f16_sdwa v8, v10, v37 dst_sel:DWORD dst_unused:UNUSED_PAD src0_sel:WORD_1 src1_sel:WORD_1
	v_fma_f16 v6, v42, s1, v6
	v_fma_f16 v40, v39, s0, v40
	v_add_f16_e32 v4, v4, v8
	v_fma_f16 v6, v39, s6, v6
	v_fma_f16 v8, v4, s4, v40
	;; [unrolled: 1-line block ×3, first 2 shown]
	v_mul_f16_e32 v4, 0x3a79, v16
	v_pk_add_f16 v12, v12, v10
	v_fma_f16 v20, v39, s5, v20
	v_fma_f16 v10, v48, s6, v4
	v_mul_f16_e32 v4, 0x3b9c, v8
	v_pk_add_f16 v12, v12, v37
	v_fma_f16 v20, v42, s6, v20
	v_fma_f16 v37, v41, s4, v4
	v_mul_f16_e32 v4, 0x34f2, v14
	v_mul_f16_e32 v16, 0xb8b4, v16
	v_fma_f16 v20, v45, s4, v20
	v_fma_f16 v56, v6, s5, -v4
	v_fma_f16 v58, v48, s7, v16
	v_mul_f16_e32 v16, 0xbb9c, v41
	v_mul_f16_e32 v6, 0x34f2, v6
	v_add_f16_e32 v45, v49, v10
	v_mul_f16_e32 v4, 0x3a79, v55
	v_add_f16_e32 v48, v52, v58
	v_fma_f16 v59, v8, s4, v16
	v_fma_f16 v60, v14, s1, -v6
	v_mul_f16_e32 v6, 0x3a79, v20
	v_pack_b32_f16 v7, v7, v15
	v_pack_b32_f16 v5, v5, v9
	v_add_f16_e32 v39, v51, v37
	v_add_f16_e32 v40, v38, v56
	v_fma_f16 v57, v20, s6, -v4
	v_pk_add_f16 v47, v21, v12
	v_add_f16_e32 v41, v18, v59
	v_add_f16_e32 v42, v54, v60
	v_fma_f16 v55, v55, s0, -v6
	s_waitcnt lgkmcnt(0)
	; wave barrier
	ds_write2_b32 v29, v5, v7 offset0:8 offset1:9
	v_pack_b32_f16 v5, v45, v48
	v_add_f16_e32 v4, v50, v57
	v_add_f16_e32 v16, v53, v55
	ds_write2_b32 v29, v47, v5 offset0:160 offset1:161
	v_pack_b32_f16 v5, v40, v42
	v_pack_b32_f16 v7, v39, v41
	v_sub_f16_e32 v8, v49, v10
	v_sub_f16_e32 v10, v51, v37
	;; [unrolled: 1-line block ×4, first 2 shown]
	ds_write2_b32 v29, v7, v5 offset0:162 offset1:163
	v_pk_add_f16 v5, v21, v12 neg_lo:[0,1] neg_hi:[0,1]
	v_pack_b32_f16 v4, v4, v16
	v_sub_f16_e32 v6, v38, v56
	v_sub_f16_e32 v14, v50, v57
	;; [unrolled: 1-line block ×4, first 2 shown]
	ds_write2_b32 v29, v4, v5 offset0:164 offset1:165
	v_pack_b32_f16 v4, v8, v20
	v_pack_b32_f16 v5, v10, v37
	ds_write2_b32 v29, v4, v5 offset0:166 offset1:167
	v_pack_b32_f16 v4, v14, v38
	v_pack_b32_f16 v5, v6, v18
	ds_write2_b32 v29, v5, v4 offset0:168 offset1:169
	v_add_u32_e32 v4, -10, v0
	v_cmp_gt_u32_e64 s[0:1], 10, v0
	v_cndmask_b32_e64 v14, v4, v0, s[0:1]
	v_mul_i32_i24_e32 v4, 3, v14
	v_mov_b32_e32 v5, 0
	v_lshlrev_b64 v[6:7], 2, v[4:5]
	v_mov_b32_e32 v4, s9
	v_add_co_u32_e64 v6, s[0:1], s8, v6
	v_pack_b32_f16 v44, v44, v46
	v_pack_b32_f16 v34, v34, v36
	;; [unrolled: 1-line block ×6, first 2 shown]
	v_addc_co_u32_e64 v7, s[0:1], v4, v7, s[0:1]
	ds_write2_b32 v29, v43, v44 offset1:1
	ds_write2_b32 v29, v33, v34 offset0:2 offset1:3
	ds_write2_b32 v29, v30, v32 offset0:4 offset1:5
	;; [unrolled: 1-line block ×3, first 2 shown]
	s_waitcnt lgkmcnt(0)
	; wave barrier
	s_waitcnt lgkmcnt(0)
	global_load_dwordx3 v[15:17], v[6:7], off
	v_or_b32_e32 v6, 16, v0
	v_mul_lo_u16_e32 v4, 26, v6
	v_lshrrev_b16_e32 v4, 8, v4
	v_mul_lo_u16_e32 v7, 10, v4
	v_sub_u16_e32 v7, v6, v7
	v_mov_b32_e32 v21, 3
	v_mul_u32_u24_sdwa v6, v7, v21 dst_sel:DWORD dst_unused:UNUSED_PAD src0_sel:BYTE_0 src1_sel:DWORD
	v_lshlrev_b32_e32 v6, 2, v6
	global_load_dwordx3 v[18:20], v6, s[8:9]
	v_or_b32_e32 v6, 32, v0
	v_mul_lo_u16_e32 v8, 26, v6
	v_lshrrev_b16_e32 v10, 8, v8
	v_mul_lo_u16_e32 v8, 10, v10
	v_sub_u16_e32 v11, v6, v8
	v_mul_u32_u24_sdwa v8, v11, v21 dst_sel:DWORD dst_unused:UNUSED_PAD src0_sel:BYTE_0 src1_sel:DWORD
	v_lshlrev_b32_e32 v8, 2, v8
	v_or_b32_e32 v9, 48, v0
	global_load_dwordx3 v[29:31], v8, s[8:9]
	v_mul_lo_u16_e32 v8, 26, v9
	v_lshrrev_b16_e32 v8, 8, v8
	v_mul_lo_u16_e32 v12, 10, v8
	v_sub_u16_e32 v9, v9, v12
	v_mul_u32_u24_sdwa v12, v9, v21 dst_sel:DWORD dst_unused:UNUSED_PAD src0_sel:BYTE_0 src1_sel:DWORD
	v_lshlrev_b32_e32 v12, 2, v12
	global_load_dwordx3 v[32:34], v12, s[8:9]
	v_or_b32_e32 v12, 64, v0
	v_mul_lo_u16_e32 v13, 0x67, v12
	v_lshrrev_b16_e32 v13, 10, v13
	v_mul_lo_u16_e32 v35, 10, v13
	v_sub_u16_e32 v12, v12, v35
	v_mul_u32_u24_sdwa v21, v12, v21 dst_sel:DWORD dst_unused:UNUSED_PAD src0_sel:BYTE_0 src1_sel:DWORD
	v_lshlrev_b32_e32 v21, 2, v21
	global_load_dwordx3 v[35:37], v21, s[8:9]
	ds_read2_b32 v[38:39], v26 offset0:144 offset1:160
	ds_read2_b32 v[40:41], v28 offset0:112 offset1:128
	;; [unrolled: 1-line block ×6, first 2 shown]
	s_waitcnt lgkmcnt(5)
	v_lshrrev_b32_e32 v21, 16, v39
	s_waitcnt lgkmcnt(4)
	v_lshrrev_b32_e32 v52, 16, v40
	;; [unrolled: 2-line block ×3, first 2 shown]
	v_lshrrev_b32_e32 v53, 16, v43
	v_lshrrev_b32_e32 v55, 16, v41
	ds_read2_b32 v[50:51], v27 offset0:16 offset1:32
	s_waitcnt lgkmcnt(3)
	v_lshrrev_b32_e32 v54, 16, v44
	s_waitcnt lgkmcnt(2)
	v_lshrrev_b32_e32 v56, 16, v46
	v_cmp_lt_u32_e64 s[0:1], 9, v0
	v_lshlrev_b32_e32 v14, 2, v14
	s_waitcnt lgkmcnt(0)
	v_lshrrev_b32_e32 v59, 16, v50
	s_waitcnt vmcnt(4)
	v_mul_f16_sdwa v58, v15, v57 dst_sel:DWORD dst_unused:UNUSED_PAD src0_sel:WORD_1 src1_sel:DWORD
	v_fma_f16 v58, v15, v42, -v58
	v_mul_f16_sdwa v42, v15, v42 dst_sel:DWORD dst_unused:UNUSED_PAD src0_sel:WORD_1 src1_sel:DWORD
	v_fma_f16 v42, v15, v57, v42
	v_mul_f16_sdwa v15, v21, v16 dst_sel:DWORD dst_unused:UNUSED_PAD src0_sel:DWORD src1_sel:WORD_1
	v_fma_f16 v57, v39, v16, -v15
	v_mul_f16_sdwa v15, v39, v16 dst_sel:DWORD dst_unused:UNUSED_PAD src0_sel:DWORD src1_sel:WORD_1
	v_fma_f16 v21, v21, v16, v15
	v_mul_f16_sdwa v15, v40, v17 dst_sel:DWORD dst_unused:UNUSED_PAD src0_sel:DWORD src1_sel:WORD_1
	v_fma_f16 v39, v52, v17, v15
	v_mul_f16_sdwa v15, v52, v17 dst_sel:DWORD dst_unused:UNUSED_PAD src0_sel:DWORD src1_sel:WORD_1
	v_fma_f16 v40, v40, v17, -v15
	s_waitcnt vmcnt(3)
	v_mul_f16_sdwa v15, v53, v18 dst_sel:DWORD dst_unused:UNUSED_PAD src0_sel:DWORD src1_sel:WORD_1
	v_fma_f16 v60, v43, v18, -v15
	v_mul_f16_sdwa v15, v43, v18 dst_sel:DWORD dst_unused:UNUSED_PAD src0_sel:DWORD src1_sel:WORD_1
	v_fma_f16 v43, v53, v18, v15
	v_mul_f16_sdwa v15, v55, v20 dst_sel:DWORD dst_unused:UNUSED_PAD src0_sel:DWORD src1_sel:WORD_1
	v_mul_f16_sdwa v17, v41, v20 dst_sel:DWORD dst_unused:UNUSED_PAD src0_sel:DWORD src1_sel:WORD_1
	v_fma_f16 v53, v41, v20, -v15
	v_fma_f16 v20, v55, v20, v17
	v_mul_f16_sdwa v17, v44, v19 dst_sel:DWORD dst_unused:UNUSED_PAD src0_sel:DWORD src1_sel:WORD_1
	v_lshrrev_b32_e32 v52, 16, v45
	v_fma_f16 v41, v54, v19, v17
	v_mul_f16_sdwa v17, v54, v19 dst_sel:DWORD dst_unused:UNUSED_PAD src0_sel:DWORD src1_sel:WORD_1
	v_fma_f16 v19, v44, v19, -v17
	s_waitcnt vmcnt(2)
	v_mul_f16_sdwa v44, v52, v30 dst_sel:DWORD dst_unused:UNUSED_PAD src0_sel:DWORD src1_sel:WORD_1
	v_fma_f16 v44, v45, v30, -v44
	v_mul_f16_sdwa v45, v45, v30 dst_sel:DWORD dst_unused:UNUSED_PAD src0_sel:DWORD src1_sel:WORD_1
	v_mul_f16_sdwa v54, v46, v29 dst_sel:DWORD dst_unused:UNUSED_PAD src0_sel:DWORD src1_sel:WORD_1
	;; [unrolled: 1-line block ×3, first 2 shown]
	ds_read2_b32 v[17:18], v26 offset0:208 offset1:224
	v_fma_f16 v54, v56, v29, v54
	v_fma_f16 v29, v46, v29, -v55
	v_fma_f16 v30, v52, v30, v45
	v_mul_f16_sdwa v45, v50, v31 dst_sel:DWORD dst_unused:UNUSED_PAD src0_sel:DWORD src1_sel:WORD_1
	v_mul_f16_sdwa v46, v59, v31 dst_sel:DWORD dst_unused:UNUSED_PAD src0_sel:DWORD src1_sel:WORD_1
	v_fma_f16 v45, v59, v31, v45
	v_fma_f16 v31, v50, v31, -v46
	v_lshrrev_b32_e32 v46, 16, v47
	s_waitcnt vmcnt(1)
	v_mul_f16_sdwa v52, v46, v32 dst_sel:DWORD dst_unused:UNUSED_PAD src0_sel:DWORD src1_sel:WORD_1
	v_fma_f16 v52, v47, v32, -v52
	v_mul_f16_sdwa v47, v47, v32 dst_sel:DWORD dst_unused:UNUSED_PAD src0_sel:DWORD src1_sel:WORD_1
	v_lshrrev_b32_e32 v55, 16, v51
	v_fma_f16 v32, v46, v32, v47
	v_mul_f16_sdwa v46, v55, v34 dst_sel:DWORD dst_unused:UNUSED_PAD src0_sel:DWORD src1_sel:WORD_1
	v_mul_f16_sdwa v47, v51, v34 dst_sel:DWORD dst_unused:UNUSED_PAD src0_sel:DWORD src1_sel:WORD_1
	v_mov_b32_e32 v59, 0xa0
	s_waitcnt lgkmcnt(0)
	v_lshrrev_b32_e32 v50, 16, v17
	v_fma_f16 v46, v51, v34, -v46
	v_fma_f16 v34, v55, v34, v47
	v_mul_f16_sdwa v47, v17, v33 dst_sel:DWORD dst_unused:UNUSED_PAD src0_sel:DWORD src1_sel:WORD_1
	v_cndmask_b32_e64 v59, 0, v59, s[0:1]
	v_fma_f16 v47, v50, v33, v47
	v_mul_f16_sdwa v50, v50, v33 dst_sel:DWORD dst_unused:UNUSED_PAD src0_sel:DWORD src1_sel:WORD_1
	v_add_u32_e32 v59, 0, v59
	v_fma_f16 v17, v17, v33, -v50
	ds_read_b32 v33, v26 offset:1216
	v_add3_u32 v14, v59, v14, v25
	ds_read_b32 v59, v1
	v_lshrrev_b32_e32 v51, 16, v38
	s_waitcnt vmcnt(0)
	v_mul_f16_sdwa v55, v51, v35 dst_sel:DWORD dst_unused:UNUSED_PAD src0_sel:DWORD src1_sel:WORD_1
	v_lshrrev_b32_e32 v50, 16, v18
	v_fma_f16 v55, v38, v35, -v55
	v_mul_f16_sdwa v38, v38, v35 dst_sel:DWORD dst_unused:UNUSED_PAD src0_sel:DWORD src1_sel:WORD_1
	v_fma_f16 v35, v51, v35, v38
	v_mul_f16_sdwa v38, v50, v36 dst_sel:DWORD dst_unused:UNUSED_PAD src0_sel:DWORD src1_sel:WORD_1
	s_waitcnt lgkmcnt(0)
	v_lshrrev_b32_e32 v61, 16, v59
	v_lshrrev_b32_e32 v56, 16, v33
	v_fma_f16 v38, v18, v36, -v38
	v_mul_f16_sdwa v18, v18, v36 dst_sel:DWORD dst_unused:UNUSED_PAD src0_sel:DWORD src1_sel:WORD_1
	v_sub_f16_e32 v57, v59, v57
	v_sub_f16_e32 v21, v61, v21
	;; [unrolled: 1-line block ×4, first 2 shown]
	v_fma_f16 v18, v50, v36, v18
	v_mul_f16_sdwa v36, v56, v37 dst_sel:DWORD dst_unused:UNUSED_PAD src0_sel:DWORD src1_sel:WORD_1
	v_fma_f16 v59, v59, 2.0, -v57
	v_fma_f16 v61, v61, 2.0, -v21
	;; [unrolled: 1-line block ×4, first 2 shown]
	v_fma_f16 v36, v33, v37, -v36
	v_mul_f16_sdwa v33, v33, v37 dst_sel:DWORD dst_unused:UNUSED_PAD src0_sel:DWORD src1_sel:WORD_1
	v_sub_f16_e32 v58, v59, v58
	v_sub_f16_e32 v42, v61, v42
	;; [unrolled: 1-line block ×3, first 2 shown]
	v_add_f16_e32 v40, v21, v40
	v_fma_f16 v33, v56, v37, v33
	v_lshrrev_b32_e32 v37, 16, v48
	v_fma_f16 v59, v59, 2.0, -v58
	v_fma_f16 v61, v61, 2.0, -v42
	;; [unrolled: 1-line block ×4, first 2 shown]
	ds_read2_b32 v[15:16], v26 offset0:48 offset1:64
	v_sub_f16_e32 v19, v48, v19
	v_pack_b32_f16 v59, v59, v61
	v_sub_f16_e32 v41, v37, v41
	v_sub_f16_e32 v53, v60, v53
	;; [unrolled: 1-line block ×3, first 2 shown]
	v_pack_b32_f16 v21, v57, v21
	v_fma_f16 v48, v48, 2.0, -v19
	v_fma_f16 v37, v37, 2.0, -v41
	;; [unrolled: 1-line block ×4, first 2 shown]
	s_waitcnt lgkmcnt(0)
	; wave barrier
	s_waitcnt lgkmcnt(0)
	ds_write2_b32 v14, v59, v21 offset1:10
	v_pack_b32_f16 v21, v58, v42
	v_pack_b32_f16 v39, v39, v40
	v_lshrrev_b32_e32 v50, 16, v49
	v_sub_f16_e32 v60, v48, v60
	v_sub_f16_e32 v43, v37, v43
	;; [unrolled: 1-line block ×3, first 2 shown]
	v_add_f16_e32 v53, v41, v53
	s_movk_i32 s0, 0xa0
	ds_write2_b32 v14, v21, v39 offset0:20 offset1:30
	v_mov_b32_e32 v14, 2
	v_sub_f16_e32 v44, v49, v44
	v_fma_f16 v48, v48, 2.0, -v60
	v_fma_f16 v37, v37, 2.0, -v43
	;; [unrolled: 1-line block ×4, first 2 shown]
	v_sub_f16_e32 v30, v50, v30
	v_sub_f16_e32 v31, v29, v31
	;; [unrolled: 1-line block ×3, first 2 shown]
	v_mad_u32_u24 v4, v4, s0, 0
	v_lshlrev_b32_sdwa v7, v14, v7 dst_sel:DWORD dst_unused:UNUSED_PAD src0_sel:DWORD src1_sel:BYTE_0
	v_fma_f16 v49, v49, 2.0, -v44
	v_fma_f16 v50, v50, 2.0, -v30
	;; [unrolled: 1-line block ×4, first 2 shown]
	v_add3_u32 v4, v4, v7, v25
	v_pack_b32_f16 v7, v48, v37
	v_pack_b32_f16 v19, v19, v41
	v_lshrrev_b32_e32 v51, 16, v15
	v_sub_f16_e32 v29, v49, v29
	v_sub_f16_e32 v54, v50, v54
	;; [unrolled: 1-line block ×3, first 2 shown]
	v_add_f16_e32 v31, v30, v31
	ds_write2_b32 v4, v7, v19 offset1:10
	v_pack_b32_f16 v7, v60, v43
	v_pack_b32_f16 v19, v20, v53
	v_sub_f16_e32 v17, v15, v17
	v_fma_f16 v49, v49, 2.0, -v29
	v_fma_f16 v50, v50, 2.0, -v54
	v_fma_f16 v44, v44, 2.0, -v45
	v_fma_f16 v30, v30, 2.0, -v31
	v_sub_f16_e32 v47, v51, v47
	v_sub_f16_e32 v46, v52, v46
	;; [unrolled: 1-line block ×3, first 2 shown]
	ds_write2_b32 v4, v7, v19 offset0:20 offset1:30
	v_mad_u32_u24 v4, v10, s0, 0
	v_lshlrev_b32_sdwa v7, v14, v11 dst_sel:DWORD dst_unused:UNUSED_PAD src0_sel:DWORD src1_sel:BYTE_0
	v_fma_f16 v15, v15, 2.0, -v17
	v_fma_f16 v51, v51, 2.0, -v47
	;; [unrolled: 1-line block ×4, first 2 shown]
	v_add3_u32 v4, v4, v7, v25
	v_pack_b32_f16 v7, v49, v50
	v_pack_b32_f16 v10, v44, v30
	v_lshrrev_b32_e32 v56, 16, v16
	v_sub_f16_e32 v52, v15, v52
	v_sub_f16_e32 v32, v51, v32
	;; [unrolled: 1-line block ×3, first 2 shown]
	v_add_f16_e32 v46, v47, v46
	ds_write2_b32 v4, v7, v10 offset1:10
	v_pack_b32_f16 v7, v29, v54
	v_pack_b32_f16 v10, v45, v31
	v_sub_f16_e32 v38, v16, v38
	v_fma_f16 v15, v15, 2.0, -v52
	v_fma_f16 v51, v51, 2.0, -v32
	;; [unrolled: 1-line block ×4, first 2 shown]
	v_sub_f16_e32 v18, v56, v18
	v_sub_f16_e32 v36, v55, v36
	;; [unrolled: 1-line block ×3, first 2 shown]
	ds_write2_b32 v4, v7, v10 offset0:20 offset1:30
	v_mad_u32_u24 v4, v8, s0, 0
	v_lshlrev_b32_sdwa v7, v14, v9 dst_sel:DWORD dst_unused:UNUSED_PAD src0_sel:DWORD src1_sel:BYTE_0
	v_fma_f16 v16, v16, 2.0, -v38
	v_fma_f16 v56, v56, 2.0, -v18
	;; [unrolled: 1-line block ×4, first 2 shown]
	v_add3_u32 v4, v4, v7, v25
	v_pack_b32_f16 v7, v15, v51
	v_pack_b32_f16 v8, v17, v47
	v_sub_f16_e32 v55, v16, v55
	v_sub_f16_e32 v35, v56, v35
	;; [unrolled: 1-line block ×3, first 2 shown]
	v_add_f16_e32 v36, v18, v36
	ds_write2_b32 v4, v7, v8 offset1:10
	v_pack_b32_f16 v7, v52, v32
	v_pack_b32_f16 v8, v34, v46
	v_fma_f16 v16, v16, 2.0, -v55
	v_fma_f16 v56, v56, 2.0, -v35
	;; [unrolled: 1-line block ×4, first 2 shown]
	ds_write2_b32 v4, v7, v8 offset0:20 offset1:30
	v_mad_u32_u24 v4, v13, s0, 0
	v_lshlrev_b32_sdwa v7, v14, v12 dst_sel:DWORD dst_unused:UNUSED_PAD src0_sel:DWORD src1_sel:BYTE_0
	v_add3_u32 v4, v4, v7, v25
	v_pack_b32_f16 v7, v16, v56
	v_pack_b32_f16 v8, v38, v18
	ds_write2_b32 v4, v7, v8 offset1:10
	v_pack_b32_f16 v7, v55, v35
	v_pack_b32_f16 v8, v33, v36
	ds_write2_b32 v4, v7, v8 offset0:20 offset1:30
	v_mul_u32_u24_e32 v4, 3, v0
	v_lshlrev_b32_e32 v20, 2, v4
	s_waitcnt lgkmcnt(0)
	; wave barrier
	s_waitcnt lgkmcnt(0)
	global_load_dwordx3 v[8:10], v20, s[8:9] offset:120
	global_load_dwordx3 v[11:13], v20, s[8:9] offset:312
	v_add_u32_e32 v4, -8, v0
	v_cmp_gt_u32_e64 s[0:1], 40, v6
	v_cndmask_b32_e64 v7, v4, v6, s[0:1]
	v_mul_i32_i24_e32 v4, 3, v7
	v_lshlrev_b64 v[14:15], 2, v[4:5]
	v_mov_b32_e32 v4, s9
	v_add_co_u32_e64 v14, s[0:1], s8, v14
	v_addc_co_u32_e64 v15, s[0:1], v4, v15, s[0:1]
	global_load_dwordx3 v[14:16], v[14:15], off offset:120
	v_add_u32_e32 v4, 0x60, v20
	global_load_dwordx3 v[17:19], v4, s[8:9] offset:120
	v_add_u32_e32 v4, 0x120, v20
	global_load_dwordx3 v[29:31], v4, s[8:9] offset:120
	ds_read2_b32 v[20:21], v26 offset0:80 offset1:96
	ds_read2_b32 v[32:33], v26 offset0:176 offset1:192
	;; [unrolled: 1-line block ×6, first 2 shown]
	s_waitcnt lgkmcnt(5)
	v_lshrrev_b32_e32 v55, 16, v20
	ds_read2_b32 v[42:43], v27 offset0:16 offset1:32
	s_waitcnt lgkmcnt(3)
	v_lshrrev_b32_e32 v48, 16, v37
	ds_read2_b32 v[44:45], v26 offset0:208 offset1:224
	v_lshrrev_b32_e32 v50, 16, v33
	s_waitcnt lgkmcnt(3)
	v_lshrrev_b32_e32 v49, 16, v38
	s_waitcnt lgkmcnt(1)
	v_lshrrev_b32_e32 v51, 16, v42
	v_lshrrev_b32_e32 v52, 16, v39
	s_waitcnt lgkmcnt(0)
	v_lshrrev_b32_e32 v53, 16, v44
	ds_read2_b32 v[46:47], v26 offset0:48 offset1:64
	v_lshrrev_b32_e32 v54, 16, v43
	v_lshrrev_b32_e32 v4, 16, v32
	v_cmp_lt_u32_e64 s[0:1], 39, v6
	v_lshlrev_b32_e32 v6, 2, v7
	s_waitcnt vmcnt(4)
	v_mul_f16_sdwa v56, v8, v55 dst_sel:DWORD dst_unused:UNUSED_PAD src0_sel:WORD_1 src1_sel:DWORD
	v_fma_f16 v56, v8, v20, -v56
	v_mul_f16_sdwa v20, v8, v20 dst_sel:DWORD dst_unused:UNUSED_PAD src0_sel:WORD_1 src1_sel:DWORD
	v_fma_f16 v8, v8, v55, v20
	v_lshrrev_b32_e32 v20, 16, v35
	v_mul_f16_sdwa v55, v9, v20 dst_sel:DWORD dst_unused:UNUSED_PAD src0_sel:WORD_1 src1_sel:DWORD
	v_fma_f16 v55, v9, v35, -v55
	v_mul_f16_sdwa v35, v9, v35 dst_sel:DWORD dst_unused:UNUSED_PAD src0_sel:WORD_1 src1_sel:DWORD
	v_fma_f16 v9, v9, v20, v35
	v_lshrrev_b32_e32 v20, 16, v36
	v_mul_f16_sdwa v35, v10, v36 dst_sel:DWORD dst_unused:UNUSED_PAD src0_sel:WORD_1 src1_sel:DWORD
	v_fma_f16 v35, v10, v20, v35
	v_mul_f16_sdwa v20, v10, v20 dst_sel:DWORD dst_unused:UNUSED_PAD src0_sel:WORD_1 src1_sel:DWORD
	v_fma_f16 v10, v10, v36, -v20
	v_lshrrev_b32_e32 v36, 16, v21
	s_waitcnt vmcnt(3)
	v_mul_f16_sdwa v57, v11, v36 dst_sel:DWORD dst_unused:UNUSED_PAD src0_sel:WORD_1 src1_sel:DWORD
	v_fma_f16 v57, v11, v21, -v57
	v_mul_f16_sdwa v21, v11, v21 dst_sel:DWORD dst_unused:UNUSED_PAD src0_sel:WORD_1 src1_sel:DWORD
	v_fma_f16 v11, v11, v36, v21
	v_mul_f16_sdwa v21, v48, v13 dst_sel:DWORD dst_unused:UNUSED_PAD src0_sel:DWORD src1_sel:WORD_1
	v_mul_f16_sdwa v36, v37, v13 dst_sel:DWORD dst_unused:UNUSED_PAD src0_sel:DWORD src1_sel:WORD_1
	v_fma_f16 v21, v37, v13, -v21
	v_fma_f16 v13, v48, v13, v36
	s_waitcnt vmcnt(2)
	v_mul_f16_sdwa v48, v50, v15 dst_sel:DWORD dst_unused:UNUSED_PAD src0_sel:DWORD src1_sel:WORD_1
	v_mul_f16_sdwa v59, v38, v14 dst_sel:DWORD dst_unused:UNUSED_PAD src0_sel:DWORD src1_sel:WORD_1
	v_fma_f16 v48, v33, v15, -v48
	v_mul_f16_sdwa v33, v33, v15 dst_sel:DWORD dst_unused:UNUSED_PAD src0_sel:DWORD src1_sel:WORD_1
	v_fma_f16 v59, v49, v14, v59
	v_mul_f16_sdwa v49, v49, v14 dst_sel:DWORD dst_unused:UNUSED_PAD src0_sel:DWORD src1_sel:WORD_1
	v_fma_f16 v14, v38, v14, -v49
	v_fma_f16 v15, v50, v15, v33
	v_mul_f16_sdwa v33, v42, v16 dst_sel:DWORD dst_unused:UNUSED_PAD src0_sel:DWORD src1_sel:WORD_1
	v_mul_f16_sdwa v38, v51, v16 dst_sel:DWORD dst_unused:UNUSED_PAD src0_sel:DWORD src1_sel:WORD_1
	v_fma_f16 v33, v51, v16, v33
	v_fma_f16 v16, v42, v16, -v38
	s_waitcnt vmcnt(1)
	v_mul_f16_sdwa v38, v52, v17 dst_sel:DWORD dst_unused:UNUSED_PAD src0_sel:DWORD src1_sel:WORD_1
	v_fma_f16 v38, v39, v17, -v38
	v_mul_f16_sdwa v39, v39, v17 dst_sel:DWORD dst_unused:UNUSED_PAD src0_sel:DWORD src1_sel:WORD_1
	ds_read_b32 v37, v1
	ds_read_b32 v58, v26 offset:1216
	v_fma_f16 v17, v52, v17, v39
	v_mul_f16_sdwa v39, v53, v18 dst_sel:DWORD dst_unused:UNUSED_PAD src0_sel:DWORD src1_sel:WORD_1
	v_mul_f16_sdwa v42, v44, v18 dst_sel:DWORD dst_unused:UNUSED_PAD src0_sel:DWORD src1_sel:WORD_1
	v_fma_f16 v39, v44, v18, -v39
	v_fma_f16 v18, v53, v18, v42
	v_mul_f16_sdwa v42, v54, v19 dst_sel:DWORD dst_unused:UNUSED_PAD src0_sel:DWORD src1_sel:WORD_1
	v_lshrrev_b32_e32 v20, 16, v34
	v_mul_f16_sdwa v36, v32, v12 dst_sel:DWORD dst_unused:UNUSED_PAD src0_sel:DWORD src1_sel:WORD_1
	v_fma_f16 v42, v43, v19, -v42
	v_mul_f16_sdwa v43, v43, v19 dst_sel:DWORD dst_unused:UNUSED_PAD src0_sel:DWORD src1_sel:WORD_1
	v_fma_f16 v36, v4, v12, v36
	v_mul_f16_sdwa v4, v4, v12 dst_sel:DWORD dst_unused:UNUSED_PAD src0_sel:DWORD src1_sel:WORD_1
	v_fma_f16 v19, v54, v19, v43
	s_waitcnt vmcnt(0)
	v_mul_f16_sdwa v43, v20, v29 dst_sel:DWORD dst_unused:UNUSED_PAD src0_sel:DWORD src1_sel:WORD_1
	v_fma_f16 v4, v32, v12, -v4
	v_lshrrev_b32_e32 v12, 16, v45
	v_fma_f16 v43, v34, v29, -v43
	v_mul_f16_sdwa v34, v34, v29 dst_sel:DWORD dst_unused:UNUSED_PAD src0_sel:DWORD src1_sel:WORD_1
	s_waitcnt lgkmcnt(0)
	v_lshrrev_b32_e32 v32, 16, v58
	v_fma_f16 v20, v20, v29, v34
	v_mul_f16_sdwa v29, v12, v30 dst_sel:DWORD dst_unused:UNUSED_PAD src0_sel:DWORD src1_sel:WORD_1
	v_mul_f16_sdwa v34, v45, v30 dst_sel:DWORD dst_unused:UNUSED_PAD src0_sel:DWORD src1_sel:WORD_1
	v_fma_f16 v29, v45, v30, -v29
	v_fma_f16 v12, v12, v30, v34
	v_mul_f16_sdwa v30, v32, v31 dst_sel:DWORD dst_unused:UNUSED_PAD src0_sel:DWORD src1_sel:WORD_1
	v_mul_f16_sdwa v34, v58, v31 dst_sel:DWORD dst_unused:UNUSED_PAD src0_sel:DWORD src1_sel:WORD_1
	v_fma_f16 v30, v58, v31, -v30
	v_fma_f16 v31, v32, v31, v34
	v_lshrrev_b32_e32 v32, 16, v37
	v_lshrrev_b32_e32 v45, 16, v40
	v_sub_f16_e32 v34, v37, v55
	v_sub_f16_e32 v9, v32, v9
	;; [unrolled: 1-line block ×8, first 2 shown]
	v_fma_f16 v44, v56, 2.0, -v10
	v_fma_f16 v8, v8, 2.0, -v35
	v_sub_f16_e32 v35, v34, v35
	v_add_f16_e32 v10, v9, v10
	v_fma_f16 v49, v57, 2.0, -v21
	v_fma_f16 v11, v11, 2.0, -v13
	v_sub_f16_e32 v13, v4, v13
	v_add_f16_e32 v21, v36, v21
	v_fma_f16 v37, v37, 2.0, -v34
	v_fma_f16 v32, v32, 2.0, -v9
	;; [unrolled: 1-line block ×8, first 2 shown]
	v_sub_f16_e32 v44, v37, v44
	v_sub_f16_e32 v8, v32, v8
	v_sub_f16_e32 v49, v40, v49
	v_sub_f16_e32 v11, v45, v11
	v_pack_b32_f16 v9, v34, v9
	v_pack_b32_f16 v4, v4, v36
	v_fma_f16 v32, v32, 2.0, -v8
	v_lshrrev_b32_e32 v50, 16, v41
	s_waitcnt lgkmcnt(0)
	; wave barrier
	v_pack_b32_f16 v8, v44, v8
	ds_write2_b32 v26, v9, v4 offset0:40 offset1:56
	v_pack_b32_f16 v4, v49, v11
	v_sub_f16_e32 v48, v41, v48
	v_sub_f16_e32 v15, v50, v15
	;; [unrolled: 1-line block ×4, first 2 shown]
	v_pack_b32_f16 v10, v35, v10
	ds_write2_b32 v26, v8, v4 offset0:80 offset1:96
	v_pack_b32_f16 v4, v13, v21
	v_fma_f16 v41, v41, 2.0, -v48
	v_fma_f16 v50, v50, 2.0, -v15
	;; [unrolled: 1-line block ×4, first 2 shown]
	v_lshrrev_b32_e32 v52, 16, v46
	v_lshrrev_b32_e32 v53, 16, v47
	ds_write2_b32 v26, v10, v4 offset0:120 offset1:136
	v_mov_b32_e32 v4, 0x280
	v_sub_f16_e32 v14, v41, v14
	v_sub_f16_e32 v51, v50, v51
	;; [unrolled: 1-line block ×3, first 2 shown]
	v_add_f16_e32 v16, v15, v16
	v_sub_f16_e32 v39, v46, v39
	v_sub_f16_e32 v18, v52, v18
	;; [unrolled: 1-line block ×8, first 2 shown]
	v_cndmask_b32_e64 v4, 0, v4, s[0:1]
	v_fma_f16 v37, v37, 2.0, -v44
	v_fma_f16 v40, v40, 2.0, -v49
	;; [unrolled: 1-line block ×15, first 2 shown]
	v_add_u32_e32 v4, 0, v4
	v_sub_f16_e32 v38, v46, v38
	v_sub_f16_e32 v17, v52, v17
	;; [unrolled: 1-line block ×4, first 2 shown]
	v_pack_b32_f16 v32, v37, v32
	v_pack_b32_f16 v34, v40, v45
	v_add3_u32 v4, v4, v6, v25
	v_pack_b32_f16 v6, v41, v50
	v_pack_b32_f16 v7, v48, v15
	v_fma_f16 v46, v46, 2.0, -v38
	v_fma_f16 v52, v52, 2.0, -v17
	v_sub_f16_e32 v19, v39, v19
	v_add_f16_e32 v42, v18, v42
	v_fma_f16 v47, v47, 2.0, -v43
	v_fma_f16 v53, v53, 2.0, -v20
	v_sub_f16_e32 v31, v29, v31
	v_add_f16_e32 v30, v12, v30
	ds_write2_b32 v26, v32, v34 offset1:16
	ds_write2_b32 v4, v6, v7 offset1:40
	v_pack_b32_f16 v6, v14, v51
	v_pack_b32_f16 v7, v33, v16
	v_fma_f16 v39, v39, 2.0, -v19
	v_fma_f16 v18, v18, 2.0, -v42
	;; [unrolled: 1-line block ×4, first 2 shown]
	ds_write2_b32 v4, v6, v7 offset0:80 offset1:120
	v_pack_b32_f16 v4, v46, v52
	v_pack_b32_f16 v9, v47, v53
	;; [unrolled: 1-line block ×3, first 2 shown]
	ds_write2_b32 v26, v4, v9 offset0:168 offset1:184
	v_pack_b32_f16 v4, v29, v12
	v_pack_b32_f16 v7, v38, v17
	ds_write2_b32 v26, v6, v4 offset0:208 offset1:224
	v_pack_b32_f16 v4, v43, v20
	v_pack_b32_f16 v8, v19, v42
	ds_write2_b32 v28, v7, v4 offset0:120 offset1:136
	v_pack_b32_f16 v4, v31, v30
	ds_write2_b32 v27, v8, v4 offset0:32 offset1:48
	s_waitcnt lgkmcnt(0)
	; wave barrier
	s_waitcnt lgkmcnt(0)
	global_load_dword v4, v24, s[8:9] offset:600
	global_load_dword v20, v23, s[8:9] offset:664
	;; [unrolled: 1-line block ×10, first 2 shown]
	ds_read_b32 v1, v1
	ds_read2_b32 v[6:7], v26 offset0:144 offset1:160
	ds_read2_b32 v[8:9], v26 offset0:16 offset1:32
	;; [unrolled: 1-line block ×7, first 2 shown]
	s_mov_b32 s0, 0xffff
	s_waitcnt vmcnt(9) lgkmcnt(6)
	v_pk_mul_f16 v23, v4, v7 op_sel:[0,1]
	v_pk_fma_f16 v24, v4, v7, v23 op_sel:[0,0,1] op_sel_hi:[1,1,0] neg_lo:[0,0,1] neg_hi:[0,0,1]
	v_pk_fma_f16 v4, v4, v7, v23 op_sel:[0,0,1] op_sel_hi:[1,0,0]
	s_waitcnt vmcnt(8) lgkmcnt(4)
	v_pk_mul_f16 v7, v20, v10 op_sel:[0,1]
	v_pk_fma_f16 v23, v20, v10, v7 op_sel:[0,0,1] op_sel_hi:[1,1,0] neg_lo:[0,0,1] neg_hi:[0,0,1]
	v_pk_fma_f16 v7, v20, v10, v7 op_sel:[0,0,1] op_sel_hi:[1,0,0]
	v_bfi_b32 v7, s0, v23, v7
	v_pk_add_f16 v20, v8, v7 neg_lo:[0,1] neg_hi:[0,1]
	s_waitcnt vmcnt(7)
	v_pk_mul_f16 v7, v21, v11 op_sel:[0,1]
	v_pk_fma_f16 v23, v8, 2.0, v20 op_sel_hi:[1,0,1] neg_lo:[0,0,1] neg_hi:[0,0,1]
	v_pk_fma_f16 v8, v21, v11, v7 op_sel:[0,0,1] op_sel_hi:[1,1,0] neg_lo:[0,0,1] neg_hi:[0,0,1]
	v_pk_fma_f16 v7, v21, v11, v7 op_sel:[0,0,1] op_sel_hi:[1,0,0]
	v_bfi_b32 v7, s0, v8, v7
	v_pk_add_f16 v11, v9, v7 neg_lo:[0,1] neg_hi:[0,1]
	s_waitcnt vmcnt(2) lgkmcnt(2)
	v_pk_mul_f16 v7, v32, v14 op_sel:[0,1]
	v_pk_fma_f16 v8, v32, v14, v7 op_sel:[0,0,1] op_sel_hi:[1,1,0] neg_lo:[0,0,1] neg_hi:[0,0,1]
	v_pk_fma_f16 v7, v32, v14, v7 op_sel:[0,0,1] op_sel_hi:[1,0,0]
	v_bfi_b32 v7, s0, v8, v7
	v_pk_add_f16 v14, v12, v7 neg_lo:[0,1] neg_hi:[0,1]
	ds_read2_b32 v[7:8], v28 offset0:112 offset1:128
	v_pk_fma_f16 v21, v9, 2.0, v11 op_sel_hi:[1,0,1] neg_lo:[0,0,1] neg_hi:[0,0,1]
	s_waitcnt vmcnt(1)
	v_pk_mul_f16 v9, v15, v33 op_sel:[0,1]
	v_pk_fma_f16 v10, v15, v33, v9 op_sel:[0,0,1] op_sel_hi:[1,1,0] neg_lo:[0,0,1] neg_hi:[0,0,1]
	v_pk_fma_f16 v9, v15, v33, v9 op_sel:[0,0,1] op_sel_hi:[1,0,0]
	v_bfi_b32 v9, s0, v10, v9
	v_pk_add_f16 v15, v13, v9 neg_lo:[0,1] neg_hi:[0,1]
	s_waitcnt lgkmcnt(0)
	v_pk_mul_f16 v9, v7, v25 op_sel:[0,1]
	v_pk_fma_f16 v10, v7, v25, v9 op_sel:[0,0,1] op_sel_hi:[1,1,0] neg_lo:[0,0,1] neg_hi:[0,0,1]
	v_pk_fma_f16 v7, v7, v25, v9 op_sel:[0,0,1] op_sel_hi:[1,0,0]
	v_bfi_b32 v7, s0, v10, v7
	ds_read2_b32 v[9:10], v27 offset0:16 offset1:32
	ds_read_b32 v28, v26 offset:1216
	v_bfi_b32 v4, s0, v24, v4
	v_pk_mul_f16 v24, v8, v29 op_sel:[0,1]
	v_pk_fma_f16 v25, v8, v29, v24 op_sel:[0,0,1] op_sel_hi:[1,1,0] neg_lo:[0,0,1] neg_hi:[0,0,1]
	v_pk_fma_f16 v8, v8, v29, v24 op_sel:[0,0,1] op_sel_hi:[1,0,0]
	s_waitcnt lgkmcnt(1)
	v_pk_mul_f16 v24, v9, v30 op_sel:[0,1]
	v_bfi_b32 v8, s0, v25, v8
	v_pk_fma_f16 v25, v9, v30, v24 op_sel:[0,0,1] op_sel_hi:[1,1,0] neg_lo:[0,0,1] neg_hi:[0,0,1]
	v_pk_fma_f16 v9, v9, v30, v24 op_sel:[0,0,1] op_sel_hi:[1,0,0]
	v_pk_mul_f16 v24, v10, v31 op_sel:[0,1]
	v_bfi_b32 v9, s0, v25, v9
	v_pk_fma_f16 v25, v10, v31, v24 op_sel:[0,0,1] op_sel_hi:[1,1,0] neg_lo:[0,0,1] neg_hi:[0,0,1]
	v_pk_fma_f16 v10, v10, v31, v24 op_sel:[0,0,1] op_sel_hi:[1,0,0]
	s_waitcnt vmcnt(0) lgkmcnt(0)
	v_pk_mul_f16 v24, v28, v34 op_sel:[0,1]
	v_bfi_b32 v10, s0, v25, v10
	v_pk_fma_f16 v25, v28, v34, v24 op_sel:[0,0,1] op_sel_hi:[1,1,0] neg_lo:[0,0,1] neg_hi:[0,0,1]
	v_pk_fma_f16 v24, v28, v34, v24 op_sel:[0,0,1] op_sel_hi:[1,0,0]
	v_pk_add_f16 v4, v1, v4 neg_lo:[0,1] neg_hi:[0,1]
	v_bfi_b32 v24, s0, v25, v24
	v_pk_fma_f16 v1, v1, 2.0, v4 op_sel_hi:[1,0,1] neg_lo:[0,0,1] neg_hi:[0,0,1]
	v_pk_add_f16 v7, v16, v7 neg_lo:[0,1] neg_hi:[0,1]
	v_pk_add_f16 v8, v17, v8 neg_lo:[0,1] neg_hi:[0,1]
	;; [unrolled: 1-line block ×5, first 2 shown]
	v_pk_fma_f16 v12, v12, 2.0, v14 op_sel_hi:[1,0,1] neg_lo:[0,0,1] neg_hi:[0,0,1]
	v_pk_fma_f16 v13, v13, 2.0, v15 op_sel_hi:[1,0,1] neg_lo:[0,0,1] neg_hi:[0,0,1]
	;; [unrolled: 1-line block ×7, first 2 shown]
	s_waitcnt lgkmcnt(0)
	; wave barrier
	ds_write2_b32 v26, v1, v23 offset1:16
	ds_write2_b32 v26, v4, v20 offset0:160 offset1:176
	ds_write2_b32 v26, v21, v12 offset0:32 offset1:48
	;; [unrolled: 1-line block ×6, first 2 shown]
	ds_write2_b32 v27, v8, v9 offset1:16
	ds_write2_b32 v26, v19, v6 offset0:128 offset1:144
	ds_write2_b32 v27, v10, v24 offset0:32 offset1:48
	s_waitcnt lgkmcnt(0)
	; wave barrier
	s_waitcnt lgkmcnt(0)
	s_and_saveexec_b64 s[0:1], vcc
	s_cbranch_execz .LBB0_19
; %bb.18:
	v_lshl_add_u32 v8, v0, 2, v22
	v_mov_b32_e32 v1, v5
	ds_read2_b32 v[6:7], v8 offset1:16
	v_mov_b32_e32 v4, s3
	v_add_co_u32_e32 v9, vcc, s2, v2
	v_lshlrev_b64 v[1:2], 2, v[0:1]
	v_addc_co_u32_e32 v10, vcc, v4, v3, vcc
	v_add_co_u32_e32 v1, vcc, v9, v1
	v_addc_co_u32_e32 v2, vcc, v10, v2, vcc
	v_add_u32_e32 v4, 16, v0
	s_waitcnt lgkmcnt(0)
	global_store_dword v[1:2], v6, off
	v_lshlrev_b64 v[1:2], 2, v[4:5]
	v_add_u32_e32 v4, 32, v0
	v_add_co_u32_e32 v1, vcc, v9, v1
	v_addc_co_u32_e32 v2, vcc, v10, v2, vcc
	global_store_dword v[1:2], v7, off
	ds_read2_b32 v[1:2], v8 offset0:32 offset1:48
	v_lshlrev_b64 v[3:4], 2, v[4:5]
	v_add_u32_e32 v6, 0x400, v8
	v_add_co_u32_e32 v3, vcc, v9, v3
	v_addc_co_u32_e32 v4, vcc, v10, v4, vcc
	s_waitcnt lgkmcnt(0)
	global_store_dword v[3:4], v1, off
	v_add_u32_e32 v4, 48, v0
	v_lshlrev_b64 v[3:4], 2, v[4:5]
	v_add_co_u32_e32 v3, vcc, v9, v3
	v_addc_co_u32_e32 v4, vcc, v10, v4, vcc
	global_store_dword v[3:4], v2, off
	v_add_u32_e32 v4, 64, v0
	ds_read2_b32 v[1:2], v8 offset0:64 offset1:80
	v_lshlrev_b64 v[3:4], 2, v[4:5]
	v_add_co_u32_e32 v3, vcc, v9, v3
	v_addc_co_u32_e32 v4, vcc, v10, v4, vcc
	s_waitcnt lgkmcnt(0)
	global_store_dword v[3:4], v1, off
	v_add_u32_e32 v4, 0x50, v0
	v_lshlrev_b64 v[3:4], 2, v[4:5]
	v_add_co_u32_e32 v3, vcc, v9, v3
	v_addc_co_u32_e32 v4, vcc, v10, v4, vcc
	global_store_dword v[3:4], v2, off
	v_add_u32_e32 v4, 0x60, v0
	ds_read2_b32 v[1:2], v8 offset0:96 offset1:112
	v_lshlrev_b64 v[3:4], 2, v[4:5]
	;; [unrolled: 12-line block ×6, first 2 shown]
	v_add_co_u32_e32 v3, vcc, v9, v3
	v_addc_co_u32_e32 v4, vcc, v10, v4, vcc
	s_waitcnt lgkmcnt(0)
	global_store_dword v[3:4], v1, off
	v_add_u32_e32 v4, 0xf0, v0
	v_lshlrev_b64 v[3:4], 2, v[4:5]
	v_add_co_u32_e32 v3, vcc, v9, v3
	v_addc_co_u32_e32 v4, vcc, v10, v4, vcc
	global_store_dword v[3:4], v2, off
	v_add_u32_e32 v4, 0x100, v0
	ds_read2_b32 v[1:2], v6 offset1:16
	v_lshlrev_b64 v[3:4], 2, v[4:5]
	v_add_co_u32_e32 v3, vcc, v9, v3
	v_addc_co_u32_e32 v4, vcc, v10, v4, vcc
	s_waitcnt lgkmcnt(0)
	global_store_dword v[3:4], v1, off
	v_add_u32_e32 v4, 0x110, v0
	v_lshlrev_b64 v[3:4], 2, v[4:5]
	v_add_co_u32_e32 v3, vcc, v9, v3
	v_addc_co_u32_e32 v4, vcc, v10, v4, vcc
	global_store_dword v[3:4], v2, off
	v_add_u32_e32 v4, 0x120, v0
	ds_read2_b32 v[1:2], v6 offset0:32 offset1:48
	v_lshlrev_b64 v[3:4], 2, v[4:5]
	v_add_co_u32_e32 v3, vcc, v9, v3
	v_addc_co_u32_e32 v4, vcc, v10, v4, vcc
	s_waitcnt lgkmcnt(0)
	global_store_dword v[3:4], v1, off
	v_add_u32_e32 v4, 0x130, v0
	v_lshlrev_b64 v[0:1], 2, v[4:5]
	v_add_co_u32_e32 v0, vcc, v9, v0
	v_addc_co_u32_e32 v1, vcc, v10, v1, vcc
	global_store_dword v[0:1], v2, off
.LBB0_19:
	s_endpgm
	.section	.rodata,"a",@progbits
	.p2align	6, 0x0
	.amdhsa_kernel fft_rtc_fwd_len320_factors_10_4_4_2_wgs_64_tpt_16_halfLds_half_ip_CI_unitstride_sbrr_C2R_dirReg
		.amdhsa_group_segment_fixed_size 0
		.amdhsa_private_segment_fixed_size 0
		.amdhsa_kernarg_size 88
		.amdhsa_user_sgpr_count 6
		.amdhsa_user_sgpr_private_segment_buffer 1
		.amdhsa_user_sgpr_dispatch_ptr 0
		.amdhsa_user_sgpr_queue_ptr 0
		.amdhsa_user_sgpr_kernarg_segment_ptr 1
		.amdhsa_user_sgpr_dispatch_id 0
		.amdhsa_user_sgpr_flat_scratch_init 0
		.amdhsa_user_sgpr_private_segment_size 0
		.amdhsa_uses_dynamic_stack 0
		.amdhsa_system_sgpr_private_segment_wavefront_offset 0
		.amdhsa_system_sgpr_workgroup_id_x 1
		.amdhsa_system_sgpr_workgroup_id_y 0
		.amdhsa_system_sgpr_workgroup_id_z 0
		.amdhsa_system_sgpr_workgroup_info 0
		.amdhsa_system_vgpr_workitem_id 0
		.amdhsa_next_free_vgpr 62
		.amdhsa_next_free_sgpr 22
		.amdhsa_reserve_vcc 1
		.amdhsa_reserve_flat_scratch 0
		.amdhsa_float_round_mode_32 0
		.amdhsa_float_round_mode_16_64 0
		.amdhsa_float_denorm_mode_32 3
		.amdhsa_float_denorm_mode_16_64 3
		.amdhsa_dx10_clamp 1
		.amdhsa_ieee_mode 1
		.amdhsa_fp16_overflow 0
		.amdhsa_exception_fp_ieee_invalid_op 0
		.amdhsa_exception_fp_denorm_src 0
		.amdhsa_exception_fp_ieee_div_zero 0
		.amdhsa_exception_fp_ieee_overflow 0
		.amdhsa_exception_fp_ieee_underflow 0
		.amdhsa_exception_fp_ieee_inexact 0
		.amdhsa_exception_int_div_zero 0
	.end_amdhsa_kernel
	.text
.Lfunc_end0:
	.size	fft_rtc_fwd_len320_factors_10_4_4_2_wgs_64_tpt_16_halfLds_half_ip_CI_unitstride_sbrr_C2R_dirReg, .Lfunc_end0-fft_rtc_fwd_len320_factors_10_4_4_2_wgs_64_tpt_16_halfLds_half_ip_CI_unitstride_sbrr_C2R_dirReg
                                        ; -- End function
	.section	.AMDGPU.csdata,"",@progbits
; Kernel info:
; codeLenInByte = 10500
; NumSgprs: 26
; NumVgprs: 62
; ScratchSize: 0
; MemoryBound: 0
; FloatMode: 240
; IeeeMode: 1
; LDSByteSize: 0 bytes/workgroup (compile time only)
; SGPRBlocks: 3
; VGPRBlocks: 15
; NumSGPRsForWavesPerEU: 26
; NumVGPRsForWavesPerEU: 62
; Occupancy: 4
; WaveLimiterHint : 1
; COMPUTE_PGM_RSRC2:SCRATCH_EN: 0
; COMPUTE_PGM_RSRC2:USER_SGPR: 6
; COMPUTE_PGM_RSRC2:TRAP_HANDLER: 0
; COMPUTE_PGM_RSRC2:TGID_X_EN: 1
; COMPUTE_PGM_RSRC2:TGID_Y_EN: 0
; COMPUTE_PGM_RSRC2:TGID_Z_EN: 0
; COMPUTE_PGM_RSRC2:TIDIG_COMP_CNT: 0
	.type	__hip_cuid_e37803d8c453775e,@object ; @__hip_cuid_e37803d8c453775e
	.section	.bss,"aw",@nobits
	.globl	__hip_cuid_e37803d8c453775e
__hip_cuid_e37803d8c453775e:
	.byte	0                               ; 0x0
	.size	__hip_cuid_e37803d8c453775e, 1

	.ident	"AMD clang version 19.0.0git (https://github.com/RadeonOpenCompute/llvm-project roc-6.4.0 25133 c7fe45cf4b819c5991fe208aaa96edf142730f1d)"
	.section	".note.GNU-stack","",@progbits
	.addrsig
	.addrsig_sym __hip_cuid_e37803d8c453775e
	.amdgpu_metadata
---
amdhsa.kernels:
  - .args:
      - .actual_access:  read_only
        .address_space:  global
        .offset:         0
        .size:           8
        .value_kind:     global_buffer
      - .offset:         8
        .size:           8
        .value_kind:     by_value
      - .actual_access:  read_only
        .address_space:  global
        .offset:         16
        .size:           8
        .value_kind:     global_buffer
      - .actual_access:  read_only
        .address_space:  global
        .offset:         24
        .size:           8
        .value_kind:     global_buffer
      - .offset:         32
        .size:           8
        .value_kind:     by_value
      - .actual_access:  read_only
        .address_space:  global
        .offset:         40
        .size:           8
        .value_kind:     global_buffer
      - .actual_access:  read_only
        .address_space:  global
        .offset:         48
        .size:           8
        .value_kind:     global_buffer
      - .offset:         56
        .size:           4
        .value_kind:     by_value
      - .actual_access:  read_only
        .address_space:  global
        .offset:         64
        .size:           8
        .value_kind:     global_buffer
      - .actual_access:  read_only
        .address_space:  global
        .offset:         72
        .size:           8
        .value_kind:     global_buffer
      - .address_space:  global
        .offset:         80
        .size:           8
        .value_kind:     global_buffer
    .group_segment_fixed_size: 0
    .kernarg_segment_align: 8
    .kernarg_segment_size: 88
    .language:       OpenCL C
    .language_version:
      - 2
      - 0
    .max_flat_workgroup_size: 64
    .name:           fft_rtc_fwd_len320_factors_10_4_4_2_wgs_64_tpt_16_halfLds_half_ip_CI_unitstride_sbrr_C2R_dirReg
    .private_segment_fixed_size: 0
    .sgpr_count:     26
    .sgpr_spill_count: 0
    .symbol:         fft_rtc_fwd_len320_factors_10_4_4_2_wgs_64_tpt_16_halfLds_half_ip_CI_unitstride_sbrr_C2R_dirReg.kd
    .uniform_work_group_size: 1
    .uses_dynamic_stack: false
    .vgpr_count:     62
    .vgpr_spill_count: 0
    .wavefront_size: 64
amdhsa.target:   amdgcn-amd-amdhsa--gfx906
amdhsa.version:
  - 1
  - 2
...

	.end_amdgpu_metadata
